;; amdgpu-corpus repo=ROCm/rocFFT kind=compiled arch=gfx950 opt=O3
	.text
	.amdgcn_target "amdgcn-amd-amdhsa--gfx950"
	.amdhsa_code_object_version 6
	.protected	bluestein_single_fwd_len425_dim1_sp_op_CI_CI ; -- Begin function bluestein_single_fwd_len425_dim1_sp_op_CI_CI
	.globl	bluestein_single_fwd_len425_dim1_sp_op_CI_CI
	.p2align	8
	.type	bluestein_single_fwd_len425_dim1_sp_op_CI_CI,@function
bluestein_single_fwd_len425_dim1_sp_op_CI_CI: ; @bluestein_single_fwd_len425_dim1_sp_op_CI_CI
; %bb.0:
	s_load_dwordx4 s[12:15], s[0:1], 0x28
	v_mul_u32_u24_e32 v1, 0xf10, v0
	v_lshrrev_b32_e32 v2, 16, v1
	v_mad_u64_u32 v[40:41], s[2:3], s2, 3, v[2:3]
	v_mov_b32_e32 v99, 0
	v_mov_b32_e32 v41, v99
	s_waitcnt lgkmcnt(0)
	v_cmp_gt_u64_e32 vcc, s[12:13], v[40:41]
	s_and_saveexec_b64 s[2:3], vcc
	s_cbranch_execz .LBB0_15
; %bb.1:
	s_load_dwordx4 s[4:7], s[0:1], 0x18
	s_load_dwordx2 s[12:13], s[0:1], 0x0
	v_mul_lo_u16_e32 v1, 17, v2
	v_sub_u16_e32 v98, v0, v1
	v_mov_b32_e32 v4, s14
	s_waitcnt lgkmcnt(0)
	s_load_dwordx4 s[8:11], s[4:5], 0x0
	v_mov_b32_e32 v5, s15
	s_mov_b32 s4, 0xaaaaaaab
	v_mul_hi_u32 v36, v40, s4
	v_lshrrev_b32_e32 v38, 1, v36
	s_waitcnt lgkmcnt(0)
	v_mad_u64_u32 v[0:1], s[2:3], s10, v40, 0
	v_mov_b32_e32 v2, v1
	v_mad_u64_u32 v[2:3], s[2:3], s11, v40, v[2:3]
	v_mov_b32_e32 v1, v2
	;; [unrolled: 2-line block ×3, first 2 shown]
	v_mad_u64_u32 v[6:7], s[2:3], s9, v98, v[6:7]
	s_mul_i32 s2, s9, 25
	s_mul_hi_u32 s3, s8, 25
	v_mov_b32_e32 v3, v6
	v_lshl_add_u64 v[0:1], v[0:1], 3, v[4:5]
	s_add_i32 s3, s3, s2
	s_mul_i32 s2, s8, 25
	v_lshl_add_u64 v[2:3], v[2:3], 3, v[0:1]
	v_lshlrev_b32_e32 v4, 3, v98
	s_lshl_b64 s[10:11], s[2:3], 3
	global_load_dwordx2 v[76:77], v4, s[12:13]
	global_load_dwordx2 v[6:7], v[2:3], off
	v_lshl_add_u64 v[2:3], v[2:3], 0, s[10:11]
	global_load_dwordx2 v[8:9], v[2:3], off
	global_load_dwordx2 v[74:75], v4, s[12:13] offset:200
	v_lshl_add_u64 v[2:3], v[2:3], 0, s[10:11]
	global_load_dwordx2 v[72:73], v4, s[12:13] offset:400
	global_load_dwordx2 v[10:11], v[2:3], off
	v_lshl_add_u64 v[2:3], v[2:3], 0, s[10:11]
	global_load_dwordx2 v[12:13], v[2:3], off
	global_load_dwordx2 v[70:71], v4, s[12:13] offset:600
	v_lshl_add_u64 v[2:3], v[2:3], 0, s[10:11]
	global_load_dwordx2 v[14:15], v[2:3], off
	global_load_dwordx2 v[68:69], v4, s[12:13] offset:800
	;; [unrolled: 3-line block ×4, first 2 shown]
	v_lshl_add_u64 v[2:3], v[2:3], 0, s[10:11]
	global_load_dwordx2 v[62:63], v4, s[12:13] offset:1400
	global_load_dwordx2 v[20:21], v[2:3], off
	v_lshl_add_u64 v[2:3], v[2:3], 0, s[10:11]
	global_load_dwordx2 v[22:23], v[2:3], off
	global_load_dwordx2 v[60:61], v4, s[12:13] offset:1600
	v_lshl_add_u64 v[2:3], v[2:3], 0, s[10:11]
	global_load_dwordx2 v[24:25], v[2:3], off
	global_load_dwordx2 v[58:59], v4, s[12:13] offset:1800
	;; [unrolled: 3-line block ×3, first 2 shown]
	global_load_dwordx2 v[54:55], v4, s[12:13] offset:2200
	v_lshl_add_u64 v[2:3], v[2:3], 0, s[10:11]
	global_load_dwordx2 v[28:29], v[2:3], off
	v_lshl_add_u64 v[2:3], v[2:3], 0, s[10:11]
	global_load_dwordx2 v[30:31], v[2:3], off
	global_load_dwordx2 v[52:53], v4, s[12:13] offset:2400
	v_lshl_add_u64 v[2:3], v[2:3], 0, s[10:11]
	global_load_dwordx2 v[32:33], v[2:3], off
	global_load_dwordx2 v[50:51], v4, s[12:13] offset:2600
	;; [unrolled: 3-line block ×3, first 2 shown]
	v_lshl_add_u64 v[2:3], v[2:3], 0, s[10:11]
	global_load_dwordx2 v[46:47], v4, s[12:13] offset:3000
	global_load_dwordx2 v[44:45], v4, s[12:13] offset:3200
	global_load_dwordx2 v[36:37], v[2:3], off
	v_lshl_add_u32 v38, v38, 1, v38
	v_lshl_add_u64 v[2:3], v[2:3], 0, s[10:11]
	v_accvgpr_write_b32 a28, v40
	v_sub_u32_e32 v40, v40, v38
	global_load_dwordx2 v[38:39], v[2:3], off
	v_mul_u32_u24_e32 v40, 0x1a9, v40
	v_mov_b32_e32 v5, v99
	v_lshlrev_b32_e32 v116, 3, v40
	v_lshl_add_u64 v[42:43], s[12:13], 0, v[4:5]
	v_add_u32_e32 v210, v4, v116
	s_load_dwordx2 s[2:3], s[0:1], 0x38
	v_accvgpr_write_b32 a2, v42
	s_load_dwordx4 s[4:7], s[6:7], 0x0
	v_accvgpr_write_b32 a3, v43
	v_cmp_gt_u16_e32 vcc, 8, v98
	s_waitcnt vmcnt(33)
	v_accvgpr_write_b32 a38, v76
	s_waitcnt vmcnt(32)
	v_mul_f32_e32 v4, v7, v77
	v_mul_f32_e32 v5, v6, v77
	v_fmac_f32_e32 v4, v6, v76
	v_fma_f32 v5, v7, v76, -v5
	s_waitcnt vmcnt(30)
	v_mul_f32_e32 v6, v9, v75
	v_mul_f32_e32 v7, v8, v75
	v_fmac_f32_e32 v6, v8, v74
	v_fma_f32 v7, v9, v74, -v7
	ds_write2_b64 v210, v[4:5], v[6:7] offset1:25
	s_waitcnt vmcnt(28)
	v_mul_f32_e32 v4, v10, v73
	v_mul_f32_e32 v8, v11, v73
	v_fma_f32 v9, v11, v72, -v4
	s_waitcnt vmcnt(26)
	v_mul_f32_e32 v4, v13, v71
	v_mul_f32_e32 v5, v12, v71
	v_fmac_f32_e32 v8, v10, v72
	v_fmac_f32_e32 v4, v12, v70
	v_fma_f32 v5, v13, v70, -v5
	ds_write2_b64 v210, v[8:9], v[4:5] offset0:50 offset1:75
	s_waitcnt vmcnt(24)
	v_mul_f32_e32 v4, v15, v69
	v_mul_f32_e32 v5, v14, v69
	s_waitcnt vmcnt(22)
	v_mul_f32_e32 v6, v17, v67
	v_mul_f32_e32 v7, v16, v67
	v_fmac_f32_e32 v4, v14, v68
	v_fma_f32 v5, v15, v68, -v5
	v_fmac_f32_e32 v6, v16, v66
	v_fma_f32 v7, v17, v66, -v7
	ds_write2_b64 v210, v[4:5], v[6:7] offset0:100 offset1:125
	s_waitcnt vmcnt(20)
	v_mul_f32_e32 v4, v19, v65
	v_mul_f32_e32 v5, v18, v65
	s_waitcnt vmcnt(18)
	v_mul_f32_e32 v6, v21, v63
	v_mul_f32_e32 v7, v20, v63
	v_fmac_f32_e32 v4, v18, v64
	v_fma_f32 v5, v19, v64, -v5
	;; [unrolled: 11-line block ×4, first 2 shown]
	v_fmac_f32_e32 v6, v28, v54
	v_fma_f32 v7, v29, v54, -v7
	v_add_u32_e32 v8, 0x400, v210
	ds_write2_b64 v8, v[4:5], v[6:7] offset0:122 offset1:147
	s_waitcnt vmcnt(8)
	v_mul_f32_e32 v4, v31, v53
	v_mul_f32_e32 v5, v30, v53
	s_waitcnt vmcnt(6)
	v_mul_f32_e32 v6, v33, v51
	v_mul_f32_e32 v7, v32, v51
	v_fmac_f32_e32 v4, v30, v52
	v_fma_f32 v5, v31, v52, -v5
	v_fmac_f32_e32 v6, v32, v50
	v_fma_f32 v7, v33, v50, -v7
	v_add_u32_e32 v9, 0x800, v210
	ds_write2_b64 v9, v[4:5], v[6:7] offset0:44 offset1:69
	s_waitcnt vmcnt(4)
	v_mul_f32_e32 v4, v35, v49
	v_mul_f32_e32 v5, v34, v49
	s_waitcnt vmcnt(1)
	v_mul_f32_e32 v6, v37, v47
	v_mul_f32_e32 v7, v36, v47
	v_fmac_f32_e32 v4, v34, v48
	v_fma_f32 v5, v35, v48, -v5
	v_fmac_f32_e32 v6, v36, v46
	v_fma_f32 v7, v37, v46, -v7
	v_accvgpr_write_b32 a36, v74
	v_accvgpr_write_b32 a34, v72
	v_accvgpr_write_b32 a32, v70
	v_accvgpr_write_b32 a30, v68
	v_accvgpr_write_b32 a26, v66
	v_accvgpr_write_b32 a24, v64
	v_accvgpr_write_b32 a22, v62
	v_accvgpr_write_b32 a20, v60
	v_accvgpr_write_b32 a18, v58
	v_accvgpr_write_b32 a16, v56
	v_accvgpr_write_b32 a14, v54
	v_accvgpr_write_b32 a12, v52
	v_accvgpr_write_b32 a10, v50
	v_accvgpr_write_b32 a8, v48
	v_accvgpr_write_b32 a6, v46
	ds_write2_b64 v9, v[4:5], v[6:7] offset0:94 offset1:119
	s_waitcnt vmcnt(0)
	v_mul_f32_e32 v4, v39, v45
	v_mul_f32_e32 v5, v38, v45
	v_accvgpr_write_b32 a39, v77
	v_accvgpr_write_b32 a37, v75
	;; [unrolled: 1-line block ×16, first 2 shown]
	v_fmac_f32_e32 v4, v38, v44
	v_accvgpr_write_b32 a206, v45           ;  Reload Reuse
	v_accvgpr_write_b32 a208, v44           ;  Reload Reuse
	v_fma_f32 v5, v39, v44, -v5
	ds_write_b64 v210, v[4:5] offset:3200
	s_and_saveexec_b64 s[14:15], vcc
	s_cbranch_execz .LBB0_3
; %bb.2:
	v_mov_b32_e32 v4, 0xfffff408
	v_mad_u64_u32 v[2:3], s[16:17], s8, v4, v[2:3]
	s_mul_i32 s16, s9, 0xfffff408
	s_sub_i32 s16, s16, s8
	v_accvgpr_read_b32 v75, a3
	v_add_u32_e32 v3, s16, v3
	v_accvgpr_read_b32 v74, a2
	global_load_dwordx2 v[4:5], v[2:3], off
	global_load_dwordx2 v[6:7], v[74:75], off offset:136
	v_lshl_add_u64 v[2:3], v[2:3], 0, s[10:11]
	global_load_dwordx2 v[10:11], v[2:3], off
	global_load_dwordx2 v[12:13], v[74:75], off offset:336
	v_lshl_add_u64 v[2:3], v[2:3], 0, s[10:11]
	global_load_dwordx2 v[14:15], v[2:3], off
	v_lshl_add_u64 v[2:3], v[2:3], 0, s[10:11]
	v_or_b32_e32 v33, 0xc0, v98
	global_load_dwordx2 v[16:17], v[74:75], off offset:536
	global_load_dwordx2 v[18:19], v[2:3], off
	global_load_dwordx2 v[20:21], v[74:75], off offset:736
	v_lshl_add_u64 v[2:3], v[2:3], 0, s[10:11]
	v_mad_u64_u32 v[30:31], s[16:17], s8, v33, 0
	global_load_dwordx2 v[22:23], v[2:3], off
	v_lshl_add_u64 v[2:3], v[2:3], 0, s[10:11]
	v_mov_b32_e32 v32, v31
	global_load_dwordx2 v[24:25], v[2:3], off
	v_lshl_add_u64 v[2:3], v[2:3], 0, s[10:11]
	v_mad_u64_u32 v[32:33], s[16:17], s9, v33, v[32:33]
	v_mov_b32_e32 v72, 0x190
	global_load_dwordx2 v[26:27], v[2:3], off
	global_load_dwordx2 v[28:29], v[74:75], off offset:936
	global_load_dwordx2 v[34:35], v[74:75], off offset:1136
	v_mov_b32_e32 v31, v32
	v_mad_u64_u32 v[2:3], s[16:17], s8, v72, v[2:3]
	s_mul_i32 s18, s9, 0x190
	v_lshl_add_u64 v[30:31], v[30:31], 3, v[0:1]
	v_add_u32_e32 v3, s18, v3
	global_load_dwordx2 v[32:33], v[74:75], off offset:1336
	global_load_dwordx2 v[36:37], v[30:31], off
	global_load_dwordx2 v[38:39], v[74:75], off offset:1536
	s_nop 0
	global_load_dwordx2 v[30:31], v[2:3], off
	global_load_dwordx2 v[40:41], v[74:75], off offset:1736
	v_lshl_add_u64 v[2:3], v[2:3], 0, s[10:11]
	global_load_dwordx2 v[42:43], v[2:3], off
	global_load_dwordx2 v[44:45], v[74:75], off offset:1936
	v_lshl_add_u64 v[2:3], v[2:3], 0, s[10:11]
	global_load_dwordx2 v[46:47], v[2:3], off
	global_load_dwordx2 v[48:49], v[74:75], off offset:2136
	global_load_dwordx2 v[50:51], v[74:75], off offset:2336
	v_or_b32_e32 v69, 0x188, v98
	v_lshl_add_u64 v[2:3], v[2:3], 0, s[10:11]
	global_load_dwordx2 v[52:53], v[2:3], off
	v_lshl_add_u64 v[2:3], v[2:3], 0, s[10:11]
	v_mad_u64_u32 v[66:67], s[16:17], s8, v69, 0
	global_load_dwordx2 v[54:55], v[2:3], off
	global_load_dwordx2 v[56:57], v[74:75], off offset:2536
	global_load_dwordx2 v[58:59], v[74:75], off offset:2736
	;; [unrolled: 1-line block ×4, first 2 shown]
	v_lshl_add_u64 v[2:3], v[2:3], 0, s[10:11]
	v_mov_b32_e32 v68, v67
	global_load_dwordx2 v[64:65], v[2:3], off
	v_lshl_add_u64 v[2:3], v[2:3], 0, s[10:11]
	v_mad_u64_u32 v[68:69], s[10:11], s9, v69, v[68:69]
	v_mov_b32_e32 v67, v68
	v_lshl_add_u64 v[0:1], v[66:67], 3, v[0:1]
	global_load_dwordx2 v[70:71], v[2:3], off
	global_load_dwordx2 v[66:67], v[0:1], off
	global_load_dwordx2 v[68:69], v[74:75], off offset:3336
	v_mad_u64_u32 v[0:1], s[8:9], s8, v72, v[2:3]
	v_add_u32_e32 v1, s18, v1
	global_load_dwordx2 v[0:1], v[0:1], off
	s_waitcnt vmcnt(32)
	v_mul_f32_e32 v2, v5, v7
	v_mul_f32_e32 v3, v4, v7
	v_fmac_f32_e32 v2, v4, v6
	v_fma_f32 v3, v5, v6, -v3
	s_waitcnt vmcnt(30)
	v_mul_f32_e32 v4, v11, v13
	v_mul_f32_e32 v5, v10, v13
	v_fmac_f32_e32 v4, v10, v12
	v_fma_f32 v5, v11, v12, -v5
	ds_write2_b64 v210, v[2:3], v[4:5] offset0:17 offset1:42
	s_waitcnt vmcnt(28)
	v_mul_f32_e32 v2, v14, v17
	v_mul_f32_e32 v6, v15, v17
	v_fma_f32 v7, v15, v16, -v2
	s_waitcnt vmcnt(26)
	v_mul_f32_e32 v2, v19, v21
	v_mul_f32_e32 v3, v18, v21
	v_fmac_f32_e32 v6, v14, v16
	v_fmac_f32_e32 v2, v18, v20
	v_fma_f32 v3, v19, v20, -v3
	ds_write2_b64 v210, v[6:7], v[2:3] offset0:67 offset1:92
	s_waitcnt vmcnt(22)
	v_mul_f32_e32 v2, v23, v29
	v_mul_f32_e32 v3, v22, v29
	s_waitcnt vmcnt(21)
	v_mul_f32_e32 v4, v25, v35
	v_mul_f32_e32 v5, v24, v35
	v_fmac_f32_e32 v2, v22, v28
	v_fma_f32 v3, v23, v28, -v3
	v_fmac_f32_e32 v4, v24, v34
	v_fma_f32 v5, v25, v34, -v5
	ds_write2_b64 v210, v[2:3], v[4:5] offset0:117 offset1:142
	s_waitcnt vmcnt(20)
	v_mul_f32_e32 v2, v27, v33
	v_mul_f32_e32 v3, v26, v33
	s_waitcnt vmcnt(18)
	v_mul_f32_e32 v4, v37, v39
	v_mul_f32_e32 v5, v36, v39
	v_fmac_f32_e32 v2, v26, v32
	v_fma_f32 v3, v27, v32, -v3
	v_fmac_f32_e32 v4, v36, v38
	v_fma_f32 v5, v37, v38, -v5
	ds_write2_b64 v210, v[2:3], v[4:5] offset0:167 offset1:192
	s_waitcnt vmcnt(16)
	v_mul_f32_e32 v2, v31, v41
	v_mul_f32_e32 v3, v30, v41
	s_waitcnt vmcnt(14)
	v_mul_f32_e32 v4, v43, v45
	v_mul_f32_e32 v5, v42, v45
	v_fmac_f32_e32 v2, v30, v40
	v_fma_f32 v3, v31, v40, -v3
	v_fmac_f32_e32 v4, v42, v44
	v_fma_f32 v5, v43, v44, -v5
	ds_write2_b64 v210, v[2:3], v[4:5] offset0:217 offset1:242
	s_waitcnt vmcnt(12)
	v_mul_f32_e32 v2, v47, v49
	v_mul_f32_e32 v3, v46, v49
	s_waitcnt vmcnt(10)
	v_mul_f32_e32 v4, v53, v51
	v_mul_f32_e32 v5, v52, v51
	v_fmac_f32_e32 v2, v46, v48
	v_fma_f32 v3, v47, v48, -v3
	v_fmac_f32_e32 v4, v52, v50
	v_fma_f32 v5, v53, v50, -v5
	ds_write2_b64 v9, v[2:3], v[4:5] offset0:11 offset1:36
	s_waitcnt vmcnt(8)
	v_mul_f32_e32 v2, v55, v57
	v_mul_f32_e32 v3, v54, v57
	s_waitcnt vmcnt(4)
	v_mul_f32_e32 v4, v65, v59
	v_mul_f32_e32 v5, v64, v59
	v_fmac_f32_e32 v2, v54, v56
	v_fma_f32 v3, v55, v56, -v3
	v_fmac_f32_e32 v4, v64, v58
	v_fma_f32 v5, v65, v58, -v5
	ds_write2_b64 v9, v[2:3], v[4:5] offset0:61 offset1:86
	s_waitcnt vmcnt(3)
	v_mul_f32_e32 v2, v71, v61
	v_mul_f32_e32 v3, v70, v61
	s_waitcnt vmcnt(2)
	v_mul_f32_e32 v4, v67, v63
	v_mul_f32_e32 v5, v66, v63
	v_fmac_f32_e32 v2, v70, v60
	v_fma_f32 v3, v71, v60, -v3
	v_fmac_f32_e32 v4, v66, v62
	v_fma_f32 v5, v67, v62, -v5
	ds_write2_b64 v9, v[2:3], v[4:5] offset0:111 offset1:136
	s_waitcnt vmcnt(0)
	v_mul_f32_e32 v2, v1, v69
	v_fmac_f32_e32 v2, v0, v68
	v_mul_f32_e32 v0, v0, v69
	v_fma_f32 v3, v1, v68, -v0
	ds_write_b64 v210, v[2:3] offset:3336
.LBB0_3:
	s_or_b64 exec, exec, s[14:15]
	s_waitcnt lgkmcnt(0)
	; wave barrier
	s_waitcnt lgkmcnt(0)
	ds_read2_b64 v[156:159], v210 offset1:25
	ds_read2_b64 v[4:7], v210 offset0:50 offset1:75
	ds_read2_b64 v[0:3], v210 offset0:100 offset1:125
	;; [unrolled: 1-line block ×7, first 2 shown]
	ds_read_b64 v[218:219], v210 offset:3200
	s_load_dwordx2 s[0:1], s[0:1], 0x8
	v_mov_b32_e32 v44, 0
	v_mov_b32_e32 v45, 0
                                        ; implicit-def: $vgpr54
                                        ; implicit-def: $vgpr56
                                        ; implicit-def: $vgpr50
                                        ; implicit-def: $vgpr70
                                        ; implicit-def: $vgpr22
                                        ; implicit-def: $vgpr14
                                        ; implicit-def: $vgpr76
                                        ; implicit-def: $vgpr12
	s_and_saveexec_b64 s[8:9], vcc
	s_cbranch_execz .LBB0_5
; %bb.4:
	ds_read2_b64 v[44:47], v210 offset0:17 offset1:42
	ds_read2_b64 v[10:13], v210 offset0:67 offset1:92
	;; [unrolled: 1-line block ×5, first 2 shown]
	v_add_u32_e32 v8, 0x800, v210
	ds_read2_b64 v[56:59], v8 offset0:11 offset1:36
	ds_read2_b64 v[70:73], v8 offset0:61 offset1:86
	;; [unrolled: 1-line block ×3, first 2 shown]
	ds_read_b64 v[14:15], v210 offset:3336
.LBB0_5:
	s_or_b64 exec, exec, s[8:9]
	v_lshl_add_u64 v[8:9], v[98:99], 0, 17
	v_accvgpr_write_b32 a114, v8
	s_waitcnt lgkmcnt(0)
	v_pk_add_f32 v[8:9], v[156:157], v[158:159]
	s_mov_b32 s8, 0xbeb8f4ab
	v_pk_add_f32 v[8:9], v[8:9], v[4:5]
	v_pk_add_f32 v[242:243], v[28:29], v[0:1]
	;; [unrolled: 1-line block ×3, first 2 shown]
	v_pk_add_f32 v[110:111], v[0:1], v[28:29] neg_lo:[0,1] neg_hi:[0,1]
	v_pk_add_f32 v[8:9], v[8:9], v[0:1]
	v_pk_add_f32 v[0:1], v[46:47], v[14:15] neg_lo:[0,1] neg_hi:[0,1]
	v_pk_add_f32 v[170:171], v[8:9], v[2:3]
	v_pk_add_f32 v[8:9], v[14:15], v[46:47]
	s_mov_b32 s9, 0x3f6eb680
	s_mov_b32 s10, 0xbf2c7751
	v_mov_b32_e32 v93, v9
	v_mov_b32_e32 v9, v0
	s_mov_b32 s44, s9
	s_mov_b32 s45, s8
	;; [unrolled: 1-line block ×3, first 2 shown]
	v_mov_b32_e32 v92, v1
	v_pk_mul_f32 v[0:1], v[8:9], s[44:45]
	s_mov_b32 s54, s11
	s_mov_b32 s55, s10
	v_pk_add_f32 v[62:63], v[26:27], v[2:3]
	v_pk_add_f32 v[142:143], v[2:3], v[26:27] neg_lo:[0,1] neg_hi:[0,1]
	v_accvgpr_write_b32 a107, v1
	v_pk_mul_f32 v[2:3], v[8:9], s[54:55]
	s_mov_b32 s14, 0xbf7ee86f
	s_mov_b32 s18, 0xbf4c4adb
	v_pk_fma_f32 v[88:89], v[92:93], s[8:9], v[0:1]
	v_accvgpr_write_b32 a106, v0
	v_pk_fma_f32 v[82:83], v[92:93], s[8:9], v[0:1] neg_lo:[0,0,1] neg_hi:[0,0,1]
	v_pk_add_f32 v[78:79], v[76:77], v[10:11]
	v_pk_add_f32 v[0:1], v[10:11], v[76:77] neg_lo:[0,1] neg_hi:[0,1]
	v_accvgpr_write_b32 a109, v3
	s_mov_b32 s15, 0x3dbcf732
	s_mov_b32 s19, 0xbf1a4643
	v_pk_fma_f32 v[94:95], v[92:93], s[10:11], v[2:3]
	v_accvgpr_write_b32 a108, v2
	v_pk_fma_f32 v[86:87], v[92:93], s[10:11], v[2:3] neg_lo:[0,0,1] neg_hi:[0,0,1]
	v_mov_b32_e32 v2, v78
	v_mov_b32_e32 v3, v0
	s_mov_b32 s52, s15
	s_mov_b32 s53, s14
	v_accvgpr_write_b32 a85, v13
	s_mov_b32 s46, s19
	s_mov_b32 s47, s18
	v_pk_add_f32 v[244:245], v[40:41], v[4:5]
	v_pk_add_f32 v[178:179], v[4:5], v[40:41] neg_lo:[0,1] neg_hi:[0,1]
	v_pk_mul_f32 v[4:5], v[2:3], s[52:53]
	v_accvgpr_write_b32 a84, v12
	v_accvgpr_write_b32 a83, v11
	;; [unrolled: 1-line block ×3, first 2 shown]
	v_pk_mul_f32 v[10:11], v[2:3], s[46:47]
	v_pk_add_f32 v[18:19], v[38:39], v[6:7]
	v_pk_add_f32 v[24:25], v[6:7], v[38:39] neg_lo:[0,1] neg_hi:[0,1]
	v_mov_b32_e32 v102, v1
	v_mov_b32_e32 v103, v79
	v_accvgpr_write_b32 a111, v5
	v_pk_add_f32 v[6:7], v[12:13], v[74:75] neg_lo:[0,1] neg_hi:[0,1]
	v_accvgpr_write_b32 a117, v11
	s_mov_b32 s36, 0x3e3c28d5
	s_mov_b32 s26, 0x3f763a35
	v_pk_fma_f32 v[126:127], v[102:103], s[14:15], v[4:5]
	v_accvgpr_write_b32 a110, v4
	v_pk_fma_f32 v[80:81], v[102:103], s[14:15], v[4:5] neg_lo:[0,0,1] neg_hi:[0,0,1]
	v_pk_add_f32 v[4:5], v[74:75], v[12:13]
	s_mov_b32 s16, 0xbf65296c
	v_pk_fma_f32 v[130:131], v[102:103], s[18:19], v[10:11]
	v_accvgpr_write_b32 a116, v10
	v_pk_fma_f32 v[84:85], v[102:103], s[18:19], v[10:11] neg_lo:[0,0,1] neg_hi:[0,0,1]
	s_mov_b32 s50, 0xbf7ba420
	v_pk_mul_f32 v[10:11], v[6:7], s[36:37] op_sel_hi:[1,0]
	v_pk_add_f32 v[90:91], v[20:21], v[72:73] neg_lo:[0,1] neg_hi:[0,1]
	s_mov_b32 s48, 0xbe8c1d8e
	v_pk_mul_f32 v[12:13], v[6:7], s[26:27] op_sel_hi:[1,0]
	s_mov_b32 s34, 0x3eb8f4ab
	s_mov_b32 s17, 0x3ee437d1
	v_pk_fma_f32 v[132:133], v[4:5], s[50:51], v[10:11] op_sel:[0,0,1] op_sel_hi:[1,0,0]
	v_pk_fma_f32 v[124:125], v[4:5], s[50:51], v[10:11] op_sel:[0,0,1] op_sel_hi:[1,0,0] neg_lo:[0,0,1] neg_hi:[0,0,1]
	v_pk_add_f32 v[10:11], v[72:73], v[20:21]
	v_pk_fma_f32 v[138:139], v[4:5], s[48:49], v[12:13] op_sel:[0,0,1] op_sel_hi:[1,0,0]
	v_pk_fma_f32 v[60:61], v[4:5], s[48:49], v[12:13] op_sel:[0,0,1] op_sel_hi:[1,0,0] neg_lo:[0,0,1] neg_hi:[0,0,1]
	s_mov_b32 s74, s9
	v_pk_mul_f32 v[12:13], v[90:91], s[34:35] op_sel:[1,0] op_sel_hi:[0,0]
	s_mov_b32 s20, 0xbe3c28d5
	s_mov_b32 s21, s50
	v_pk_fma_f32 v[140:141], v[10:11], s[74:75], v[12:13] op_sel_hi:[1,0,1]
	v_pk_fma_f32 v[106:107], v[10:11], s[74:75], v[12:13] op_sel_hi:[1,0,1] neg_lo:[0,0,1] neg_hi:[0,0,1]
	v_accvgpr_write_b32 a81, v73
	v_pk_add_f32 v[100:101], v[22:23], v[70:71] neg_lo:[0,1] neg_hi:[0,1]
	s_mov_b32 s68, s17
	v_pk_mul_f32 v[12:13], v[90:91], s[16:17] op_sel:[1,0] op_sel_hi:[0,0]
	s_mov_b32 s51, s20
	v_pk_add_f32 v[96:97], v[70:71], v[22:23]
	v_accvgpr_write_b32 a80, v72
	v_accvgpr_write_b32 a79, v71
	;; [unrolled: 1-line block ×3, first 2 shown]
	v_pk_fma_f32 v[146:147], v[10:11], s[68:69], v[12:13] op_sel_hi:[1,0,1]
	v_pk_fma_f32 v[70:71], v[10:11], s[68:69], v[12:13] op_sel_hi:[1,0,1] neg_lo:[0,0,1] neg_hi:[0,0,1]
	v_pk_mul_f32 v[12:13], v[100:101], s[20:21] op_sel:[1,0] op_sel_hi:[0,0]
	s_mov_b32 s40, 0x3f7ee86f
	v_pk_fma_f32 v[148:149], v[96:97], s[50:51], v[12:13] op_sel_hi:[1,0,1]
	v_pk_fma_f32 v[118:119], v[96:97], s[50:51], v[12:13] op_sel_hi:[1,0,1] neg_lo:[0,0,1] neg_hi:[0,0,1]
	v_pk_add_f32 v[108:109], v[48:49], v[58:59] neg_lo:[0,1] neg_hi:[0,1]
	s_mov_b32 s66, s15
	v_pk_mul_f32 v[12:13], v[100:101], s[40:41] op_sel:[1,0] op_sel_hi:[0,0]
	s_mov_b32 s72, s11
	v_pk_add_f32 v[104:105], v[58:59], v[48:49]
	v_pk_fma_f32 v[160:161], v[96:97], s[66:67], v[12:13] op_sel_hi:[1,0,1]
	v_pk_fma_f32 v[120:121], v[96:97], s[66:67], v[12:13] op_sel_hi:[1,0,1] neg_lo:[0,0,1] neg_hi:[0,0,1]
	v_pk_mul_f32 v[12:13], v[108:109], s[10:11] op_sel:[1,0] op_sel_hi:[0,0]
	s_mov_b32 s60, s17
	s_mov_b32 s61, s16
	;; [unrolled: 1-line block ×3, first 2 shown]
	v_pk_fma_f32 v[162:163], v[104:105], s[72:73], v[12:13] op_sel_hi:[1,0,1]
	v_pk_fma_f32 v[122:123], v[104:105], s[72:73], v[12:13] op_sel_hi:[1,0,1] neg_lo:[0,0,1] neg_hi:[0,0,1]
	v_accvgpr_write_b32 a69, v51
	v_pk_add_f32 v[114:115], v[50:51], v[56:57] neg_lo:[0,1] neg_hi:[0,1]
	v_pk_mul_f32 v[12:13], v[108:109], s[20:21] op_sel:[1,0] op_sel_hi:[0,0]
	v_accvgpr_write_b32 a87, v15
	v_pk_mul_f32 v[128:129], v[8:9], s[60:61]
	v_pk_add_f32 v[112:113], v[56:57], v[50:51]
	v_accvgpr_write_b32 a68, v50
	v_accvgpr_write_b32 a67, v49
	;; [unrolled: 1-line block ×4, first 2 shown]
	v_pk_fma_f32 v[166:167], v[104:105], s[50:51], v[12:13] op_sel_hi:[1,0,1]
	v_pk_fma_f32 v[48:49], v[104:105], s[50:51], v[12:13] op_sel_hi:[1,0,1] neg_lo:[0,0,1] neg_hi:[0,0,1]
	v_pk_mul_f32 v[12:13], v[114:115], s[38:39] op_sel:[1,0] op_sel_hi:[0,0]
	v_accvgpr_write_b32 a65, v55
	v_accvgpr_write_b32 a86, v14
	v_accvgpr_write_b32 a72, v58
	v_accvgpr_write_b32 a71, v57
	v_accvgpr_write_b32 a70, v56
	v_pk_fma_f32 v[168:169], v[112:113], s[72:73], v[12:13] op_sel_hi:[1,0,1]
	v_pk_fma_f32 v[56:57], v[112:113], s[72:73], v[12:13] op_sel_hi:[1,0,1] neg_lo:[0,0,1] neg_hi:[0,0,1]
	v_pk_add_f32 v[14:15], v[54:55], v[52:53]
	v_accvgpr_write_b32 a64, v54
	v_accvgpr_write_b32 a63, v53
	;; [unrolled: 1-line block ×3, first 2 shown]
	v_pk_add_f32 v[12:13], v[52:53], v[54:55] neg_lo:[0,1] neg_hi:[0,1]
	v_accvgpr_write_b32 a93, v89
	v_mov_b32_e32 v82, v88
	v_accvgpr_write_b32 a95, v95
	v_mov_b32_e32 v86, v94
	v_pk_fma_f32 v[52:53], v[92:93], s[16:17], v[128:129]
	v_pk_fma_f32 v[88:89], v[92:93], s[16:17], v[128:129] neg_lo:[0,0,1] neg_hi:[0,0,1]
	v_pk_mul_f32 v[94:95], v[0:1], s[10:11] op_sel:[1,0] op_sel_hi:[0,0]
	v_accvgpr_write_b32 a143, v53
	v_mov_b32_e32 v88, v52
	v_pk_fma_f32 v[52:53], v[78:79], s[72:73], v[94:95] op_sel_hi:[1,0,1]
	v_pk_fma_f32 v[54:55], v[78:79], s[72:73], v[94:95] op_sel_hi:[1,0,1] neg_lo:[0,0,1] neg_hi:[0,0,1]
	v_pk_mul_f32 v[134:135], v[8:9], s[52:53]
	v_pk_add_f32 v[82:83], v[82:83], v[44:45]
	v_pk_add_f32 v[88:89], v[88:89], v[44:45]
	v_mov_b32_e32 v78, v52
	v_mov_b32_e32 v79, v55
	v_mov_b32_e32 v84, v130
	v_pk_mul_f32 v[136:137], v[2:3], s[50:51]
	v_pk_add_f32 v[86:87], v[86:87], v[44:45]
	v_accvgpr_write_b32 a141, v53
	v_pk_add_f32 v[78:79], v[78:79], v[82:83]
	v_mov_b32_e32 v80, v126
	v_pk_add_f32 v[82:83], v[84:85], v[88:89]
	v_pk_fma_f32 v[52:53], v[92:93], s[14:15], v[134:135]
	v_pk_fma_f32 v[84:85], v[92:93], s[14:15], v[134:135] neg_lo:[0,0,1] neg_hi:[0,0,1]
	v_pk_add_f32 v[80:81], v[80:81], v[86:87]
	v_accvgpr_write_b32 a155, v53
	v_mov_b32_e32 v84, v52
	v_pk_fma_f32 v[52:53], v[102:103], s[20:21], v[136:137]
	v_pk_fma_f32 v[86:87], v[102:103], s[20:21], v[136:137] neg_lo:[0,0,1] neg_hi:[0,0,1]
	v_pk_add_f32 v[84:85], v[84:85], v[44:45]
	v_mov_b32_e32 v86, v52
	v_pk_add_f32 v[84:85], v[86:87], v[84:85]
	v_pk_mul_f32 v[86:87], v[6:7], s[16:17] op_sel_hi:[1,0]
	v_accvgpr_write_b32 a140, v54
	v_accvgpr_write_b32 a153, v53
	v_pk_fma_f32 v[52:53], v[4:5], s[68:69], v[86:87] op_sel:[0,0,1] op_sel_hi:[1,0,0]
	v_pk_fma_f32 v[54:55], v[4:5], s[68:69], v[86:87] op_sel:[0,0,1] op_sel_hi:[1,0,0] neg_lo:[0,0,1] neg_hi:[0,0,1]
	v_mov_b32_e32 v86, v52
	v_mov_b32_e32 v87, v55
	s_mov_b32 s78, s19
	v_pk_add_f32 v[78:79], v[86:87], v[78:79]
	v_pk_mul_f32 v[86:87], v[6:7], s[18:19] op_sel_hi:[1,0]
	v_accvgpr_write_b32 a147, v53
	v_accvgpr_write_b32 a142, v54
	v_pk_fma_f32 v[52:53], v[4:5], s[78:79], v[86:87] op_sel:[0,0,1] op_sel_hi:[1,0,0]
	v_pk_fma_f32 v[54:55], v[4:5], s[78:79], v[86:87] op_sel:[0,0,1] op_sel_hi:[1,0,0] neg_lo:[0,0,1] neg_hi:[0,0,1]
	s_mov_b32 s22, 0xbf763a35
	s_mov_b32 s24, 0x3f06c442
	v_mov_b32_e32 v86, v52
	v_mov_b32_e32 v87, v55
	s_mov_b32 s49, s22
	s_mov_b32 s25, 0xbf59a7d5
	v_pk_add_f32 v[80:81], v[86:87], v[80:81]
	v_mov_b32_e32 v86, v132
	v_mov_b32_e32 v87, v125
	s_mov_b32 s23, s48
	v_pk_mul_f32 v[150:151], v[8:9], s[48:49]
	s_mov_b32 s64, s25
	s_mov_b32 s65, s24
	v_pk_add_f32 v[82:83], v[86:87], v[82:83]
	v_mov_b32_e32 v86, v138
	v_mov_b32_e32 v87, v61
	v_accvgpr_write_b32 a91, v77
	v_pk_mul_f32 v[152:153], v[2:3], s[64:65]
	v_accvgpr_write_b32 a151, v53
	v_pk_add_f32 v[84:85], v[86:87], v[84:85]
	v_pk_fma_f32 v[52:53], v[92:93], s[22:23], v[150:151]
	v_pk_fma_f32 v[86:87], v[92:93], s[22:23], v[150:151] neg_lo:[0,0,1] neg_hi:[0,0,1]
	v_accvgpr_write_b32 a90, v76
	v_accvgpr_write_b32 a89, v75
	;; [unrolled: 1-line block ×3, first 2 shown]
	v_pk_mul_f32 v[76:77], v[6:7], s[38:39] op_sel_hi:[1,0]
	v_accvgpr_write_b32 a165, v53
	v_mov_b32_e32 v86, v52
	v_pk_fma_f32 v[52:53], v[102:103], s[24:25], v[152:153]
	v_pk_fma_f32 v[88:89], v[102:103], s[24:25], v[152:153] neg_lo:[0,0,1] neg_hi:[0,0,1]
	v_accvgpr_write_b32 a144, v54
	v_accvgpr_write_b32 a163, v53
	v_mov_b32_e32 v88, v52
	v_pk_fma_f32 v[54:55], v[4:5], s[72:73], v[76:77] op_sel:[0,0,1] op_sel_hi:[1,0,0]
	v_pk_fma_f32 v[52:53], v[4:5], s[72:73], v[76:77] op_sel:[0,0,1] op_sel_hi:[1,0,0] neg_lo:[0,0,1] neg_hi:[0,0,1]
	v_pk_add_f32 v[86:87], v[86:87], v[44:45]
	v_mov_b32_e32 v76, v54
	v_mov_b32_e32 v77, v53
	v_pk_add_f32 v[86:87], v[88:89], v[86:87]
	v_accvgpr_write_b32 a167, v55
	v_pk_add_f32 v[76:77], v[76:77], v[86:87]
	v_pk_mul_f32 v[86:87], v[90:91], s[14:15] op_sel:[1,0] op_sel_hi:[0,0]
	v_accvgpr_write_b32 a134, v52
	v_pk_fma_f32 v[52:53], v[10:11], s[66:67], v[86:87] op_sel_hi:[1,0,1]
	v_pk_fma_f32 v[54:55], v[10:11], s[66:67], v[86:87] op_sel_hi:[1,0,1] neg_lo:[0,0,1] neg_hi:[0,0,1]
	v_mov_b32_e32 v86, v52
	v_mov_b32_e32 v87, v55
	v_pk_add_f32 v[78:79], v[86:87], v[78:79]
	v_pk_mul_f32 v[86:87], v[90:91], s[20:21] op_sel:[1,0] op_sel_hi:[0,0]
	v_accvgpr_write_b32 a157, v53
	v_accvgpr_write_b32 a150, v54
	v_pk_fma_f32 v[52:53], v[10:11], s[50:51], v[86:87] op_sel_hi:[1,0,1]
	v_pk_fma_f32 v[54:55], v[10:11], s[50:51], v[86:87] op_sel_hi:[1,0,1] neg_lo:[0,0,1] neg_hi:[0,0,1]
	s_mov_b32 s27, s48
	v_mov_b32_e32 v86, v52
	v_mov_b32_e32 v87, v55
	v_pk_add_f32 v[80:81], v[86:87], v[80:81]
	v_pk_mul_f32 v[86:87], v[90:91], s[26:27] op_sel:[1,0] op_sel_hi:[0,0]
	v_accvgpr_write_b32 a161, v53
	v_accvgpr_write_b32 a154, v54
	v_pk_fma_f32 v[52:53], v[10:11], s[48:49], v[86:87] op_sel_hi:[1,0,1]
	v_pk_fma_f32 v[54:55], v[10:11], s[48:49], v[86:87] op_sel_hi:[1,0,1] neg_lo:[0,0,1] neg_hi:[0,0,1]
	v_mov_b32_e32 v86, v52
	v_mov_b32_e32 v87, v55
	v_pk_add_f32 v[82:83], v[86:87], v[82:83]
	v_mov_b32_e32 v86, v140
	v_mov_b32_e32 v87, v107
	v_pk_mul_f32 v[154:155], v[8:9], s[46:47]
	s_mov_b32 s62, s48
	s_mov_b32 s63, s26
	v_pk_add_f32 v[84:85], v[86:87], v[84:85]
	v_mov_b32_e32 v86, v146
	v_mov_b32_e32 v87, v71
	v_pk_add_f32 v[246:247], v[218:219], v[158:159]
	v_pk_add_f32 v[16:17], v[158:159], v[218:219] neg_lo:[0,1] neg_hi:[0,1]
	v_accvgpr_write_b32 a77, v23
	v_pk_mul_f32 v[158:159], v[2:3], s[62:63]
	v_accvgpr_write_b32 a159, v53
	v_pk_add_f32 v[76:77], v[86:87], v[76:77]
	v_pk_fma_f32 v[52:53], v[92:93], s[18:19], v[154:155]
	v_pk_fma_f32 v[86:87], v[92:93], s[18:19], v[154:155] neg_lo:[0,0,1] neg_hi:[0,0,1]
	v_accvgpr_write_b32 a76, v22
	v_accvgpr_write_b32 a75, v21
	;; [unrolled: 1-line block ×3, first 2 shown]
	v_pk_mul_f32 v[22:23], v[6:7], s[8:9] op_sel_hi:[1,0]
	s_mov_b32 s28, 0xbf06c442
	v_accvgpr_write_b32 a179, v53
	v_mov_b32_e32 v86, v52
	v_pk_fma_f32 v[52:53], v[102:103], s[26:27], v[158:159]
	v_pk_fma_f32 v[88:89], v[102:103], s[26:27], v[158:159] neg_lo:[0,0,1] neg_hi:[0,0,1]
	s_mov_b32 s76, s25
	v_pk_mul_f32 v[74:75], v[90:91], s[28:29] op_sel:[1,0] op_sel_hi:[0,0]
	v_accvgpr_write_b32 a152, v54
	v_accvgpr_write_b32 a177, v53
	v_mov_b32_e32 v88, v52
	v_pk_fma_f32 v[54:55], v[4:5], s[74:75], v[22:23] op_sel:[0,0,1] op_sel_hi:[1,0,0]
	v_pk_fma_f32 v[52:53], v[4:5], s[74:75], v[22:23] op_sel:[0,0,1] op_sel_hi:[1,0,0] neg_lo:[0,0,1] neg_hi:[0,0,1]
	v_pk_add_f32 v[86:87], v[86:87], v[44:45]
	v_accvgpr_write_b32 a181, v55
	v_mov_b32_e32 v22, v54
	v_accvgpr_write_b32 a146, v52
	v_mov_b32_e32 v23, v53
	v_pk_fma_f32 v[54:55], v[10:11], s[76:77], v[74:75] op_sel_hi:[1,0,1]
	v_pk_fma_f32 v[52:53], v[10:11], s[76:77], v[74:75] op_sel_hi:[1,0,1] neg_lo:[0,0,1] neg_hi:[0,0,1]
	v_pk_add_f32 v[86:87], v[88:89], v[86:87]
	v_mov_b32_e32 v74, v54
	v_mov_b32_e32 v75, v53
	v_pk_add_f32 v[22:23], v[22:23], v[86:87]
	v_accvgpr_write_b32 a183, v55
	v_pk_add_f32 v[22:23], v[74:75], v[22:23]
	v_pk_mul_f32 v[74:75], v[100:101], s[22:23] op_sel:[1,0] op_sel_hi:[0,0]
	v_accvgpr_write_b32 a148, v52
	v_pk_fma_f32 v[52:53], v[96:97], s[48:49], v[74:75] op_sel_hi:[1,0,1]
	v_pk_fma_f32 v[54:55], v[96:97], s[48:49], v[74:75] op_sel_hi:[1,0,1] neg_lo:[0,0,1] neg_hi:[0,0,1]
	v_mov_b32_e32 v74, v52
	v_mov_b32_e32 v75, v55
	v_pk_add_f32 v[74:75], v[74:75], v[78:79]
	v_pk_mul_f32 v[78:79], v[100:101], s[24:25] op_sel:[1,0] op_sel_hi:[0,0]
	v_accvgpr_write_b32 a169, v53
	v_accvgpr_write_b32 a156, v54
	v_pk_fma_f32 v[52:53], v[96:97], s[76:77], v[78:79] op_sel_hi:[1,0,1]
	v_pk_fma_f32 v[54:55], v[96:97], s[76:77], v[78:79] op_sel_hi:[1,0,1] neg_lo:[0,0,1] neg_hi:[0,0,1]
	v_mov_b32_e32 v78, v52
	v_mov_b32_e32 v79, v55
	v_pk_add_f32 v[78:79], v[78:79], v[80:81]
	v_pk_mul_f32 v[80:81], v[100:101], s[38:39] op_sel:[1,0] op_sel_hi:[0,0]
	v_accvgpr_write_b32 a175, v53
	;; [unrolled: 8-line block ×3, first 2 shown]
	v_accvgpr_write_b32 a166, v54
	v_pk_fma_f32 v[52:53], v[96:97], s[68:69], v[82:83] op_sel_hi:[1,0,1]
	v_pk_fma_f32 v[54:55], v[96:97], s[68:69], v[82:83] op_sel_hi:[1,0,1] neg_lo:[0,0,1] neg_hi:[0,0,1]
	v_mov_b32_e32 v82, v52
	v_mov_b32_e32 v83, v55
	s_mov_b32 s58, s25
	s_mov_b32 s59, s28
	;; [unrolled: 1-line block ×3, first 2 shown]
	v_pk_add_f32 v[82:83], v[82:83], v[84:85]
	v_mov_b32_e32 v84, v148
	v_mov_b32_e32 v85, v119
	s_mov_b32 s29, s25
	v_pk_mul_f32 v[58:59], v[8:9], s[58:59]
	s_mov_b32 s56, s17
	s_mov_b32 s57, s30
	v_pk_add_f32 v[76:77], v[84:85], v[76:77]
	v_mov_b32_e32 v84, v160
	v_mov_b32_e32 v85, v121
	s_mov_b32 s31, s17
	v_pk_mul_f32 v[164:165], v[2:3], s[56:57]
	v_accvgpr_write_b32 a171, v53
	v_pk_add_f32 v[22:23], v[84:85], v[22:23]
	v_pk_fma_f32 v[52:53], v[92:93], s[28:29], v[58:59]
	v_pk_fma_f32 v[84:85], v[92:93], s[28:29], v[58:59] neg_lo:[0,0,1] neg_hi:[0,0,1]
	v_pk_mul_f32 v[72:73], v[6:7], s[14:15] op_sel_hi:[1,0]
	s_mov_b32 s42, 0x3f4c4adb
	v_accvgpr_write_b32 a195, v53
	v_mov_b32_e32 v84, v52
	v_pk_fma_f32 v[52:53], v[102:103], s[30:31], v[164:165]
	v_pk_fma_f32 v[86:87], v[102:103], s[30:31], v[164:165] neg_lo:[0,0,1] neg_hi:[0,0,1]
	v_pk_mul_f32 v[50:51], v[90:91], s[42:43] op_sel:[1,0] op_sel_hi:[0,0]
	v_accvgpr_write_b32 a164, v54
	v_accvgpr_write_b32 a193, v53
	v_mov_b32_e32 v86, v52
	v_pk_fma_f32 v[54:55], v[4:5], s[66:67], v[72:73] op_sel:[0,0,1] op_sel_hi:[1,0,0]
	v_pk_fma_f32 v[52:53], v[4:5], s[66:67], v[72:73] op_sel:[0,0,1] op_sel_hi:[1,0,0] neg_lo:[0,0,1] neg_hi:[0,0,1]
	v_pk_add_f32 v[84:85], v[84:85], v[44:45]
	v_pk_mul_f32 v[20:21], v[100:101], s[8:9] op_sel:[1,0] op_sel_hi:[0,0]
	v_accvgpr_write_b32 a197, v55
	v_mov_b32_e32 v72, v54
	v_accvgpr_write_b32 a158, v52
	v_mov_b32_e32 v73, v53
	v_pk_fma_f32 v[54:55], v[10:11], s[78:79], v[50:51] op_sel_hi:[1,0,1]
	v_pk_fma_f32 v[52:53], v[10:11], s[78:79], v[50:51] op_sel_hi:[1,0,1] neg_lo:[0,0,1] neg_hi:[0,0,1]
	v_pk_add_f32 v[84:85], v[86:87], v[84:85]
	v_accvgpr_write_b32 a201, v55
	v_mov_b32_e32 v50, v54
	v_accvgpr_write_b32 a160, v52
	v_mov_b32_e32 v51, v53
	v_pk_fma_f32 v[54:55], v[96:97], s[74:75], v[20:21] op_sel_hi:[1,0,1]
	v_pk_fma_f32 v[52:53], v[96:97], s[74:75], v[20:21] op_sel_hi:[1,0,1] neg_lo:[0,0,1] neg_hi:[0,0,1]
	v_pk_add_f32 v[72:73], v[72:73], v[84:85]
	v_mov_b32_e32 v20, v54
	v_mov_b32_e32 v21, v53
	v_pk_add_f32 v[50:51], v[50:51], v[72:73]
	v_accvgpr_write_b32 a203, v55
	v_pk_add_f32 v[20:21], v[20:21], v[50:51]
	v_pk_mul_f32 v[50:51], v[108:109], s[18:19] op_sel:[1,0] op_sel_hi:[0,0]
	v_accvgpr_write_b32 a162, v52
	v_pk_fma_f32 v[52:53], v[104:105], s[78:79], v[50:51] op_sel_hi:[1,0,1]
	v_pk_fma_f32 v[54:55], v[104:105], s[78:79], v[50:51] op_sel_hi:[1,0,1] neg_lo:[0,0,1] neg_hi:[0,0,1]
	v_mov_b32_e32 v50, v52
	v_mov_b32_e32 v51, v55
	v_pk_mul_f32 v[72:73], v[108:109], s[26:27] op_sel:[1,0] op_sel_hi:[0,0]
	v_accvgpr_write_b32 a185, v53
	v_accvgpr_write_b32 a170, v54
	v_pk_add_f32 v[50:51], v[50:51], v[74:75]
	v_pk_fma_f32 v[52:53], v[104:105], s[48:49], v[72:73] op_sel_hi:[1,0,1]
	v_pk_fma_f32 v[54:55], v[104:105], s[48:49], v[72:73] op_sel_hi:[1,0,1] neg_lo:[0,0,1] neg_hi:[0,0,1]
	v_pk_mul_f32 v[74:75], v[108:109], s[8:9] op_sel:[1,0] op_sel_hi:[0,0]
	v_accvgpr_write_b32 a199, v53
	v_mov_b32_e32 v72, v52
	v_accvgpr_write_b32 a178, v54
	v_mov_b32_e32 v73, v55
	v_pk_fma_f32 v[52:53], v[104:105], s[74:75], v[74:75] op_sel_hi:[1,0,1]
	v_pk_fma_f32 v[54:55], v[104:105], s[74:75], v[74:75] op_sel_hi:[1,0,1] neg_lo:[0,0,1] neg_hi:[0,0,1]
	v_pk_add_f32 v[72:73], v[72:73], v[78:79]
	v_mov_b32_e32 v74, v52
	v_mov_b32_e32 v75, v55
	v_pk_mul_f32 v[78:79], v[108:109], s[28:29] op_sel:[1,0] op_sel_hi:[0,0]
	v_accvgpr_write_b32 a191, v53
	v_accvgpr_write_b32 a176, v54
	v_pk_add_f32 v[74:75], v[74:75], v[80:81]
	v_pk_fma_f32 v[52:53], v[104:105], s[76:77], v[78:79] op_sel_hi:[1,0,1]
	v_pk_fma_f32 v[54:55], v[104:105], s[76:77], v[78:79] op_sel_hi:[1,0,1] neg_lo:[0,0,1] neg_hi:[0,0,1]
	v_pk_mul_f32 v[80:81], v[108:109], s[40:41] op_sel:[1,0] op_sel_hi:[0,0]
	v_accvgpr_write_b32 a189, v53
	v_mov_b32_e32 v78, v52
	v_accvgpr_write_b32 a174, v54
	v_mov_b32_e32 v79, v55
	v_pk_fma_f32 v[52:53], v[104:105], s[66:67], v[80:81] op_sel_hi:[1,0,1]
	v_pk_fma_f32 v[54:55], v[104:105], s[66:67], v[80:81] op_sel_hi:[1,0,1] neg_lo:[0,0,1] neg_hi:[0,0,1]
	v_mov_b32_e32 v80, v52
	v_mov_b32_e32 v81, v55
	v_pk_add_f32 v[76:77], v[80:81], v[76:77]
	v_mov_b32_e32 v80, v162
	v_mov_b32_e32 v81, v123
	v_pk_add_f32 v[80:81], v[80:81], v[22:23]
	;; [unrolled: 3-line block ×3, first 2 shown]
	v_pk_add_f32 v[82:83], v[22:23], v[20:21]
	v_pk_mul_f32 v[20:21], v[114:115], s[28:29] op_sel:[1,0] op_sel_hi:[0,0]
	v_accvgpr_write_b32 a122, v48
	v_pk_fma_f32 v[22:23], v[112:113], s[76:77], v[20:21] op_sel_hi:[1,0,1]
	v_pk_fma_f32 v[48:49], v[112:113], s[76:77], v[20:21] op_sel_hi:[1,0,1] neg_lo:[0,0,1] neg_hi:[0,0,1]
	v_mov_b32_e32 v20, v22
	v_mov_b32_e32 v21, v49
	v_pk_add_f32 v[84:85], v[20:21], v[50:51]
	v_pk_mul_f32 v[20:21], v[114:115], s[30:31] op_sel:[1,0] op_sel_hi:[0,0]
	v_accvgpr_write_b32 a209, v23
	v_accvgpr_write_b32 a184, v48
	v_pk_fma_f32 v[22:23], v[112:113], s[68:69], v[20:21] op_sel_hi:[1,0,1]
	v_pk_fma_f32 v[48:49], v[112:113], s[68:69], v[20:21] op_sel_hi:[1,0,1] neg_lo:[0,0,1] neg_hi:[0,0,1]
	v_mov_b32_e32 v20, v22
	v_mov_b32_e32 v21, v49
	v_pk_add_f32 v[50:51], v[20:21], v[72:73]
	v_pk_mul_f32 v[20:21], v[114:115], s[14:15] op_sel:[1,0] op_sel_hi:[0,0]
	v_accvgpr_write_b32 a215, v23
	;; [unrolled: 8-line block ×3, first 2 shown]
	v_pk_fma_f32 v[22:23], v[112:113], s[78:79], v[20:21] op_sel_hi:[1,0,1]
	v_accvgpr_write_b32 a188, v48
	v_pk_fma_f32 v[48:49], v[112:113], s[78:79], v[20:21] op_sel_hi:[1,0,1] neg_lo:[0,0,1] neg_hi:[0,0,1]
	v_accvgpr_write_b32 a211, v23
	v_mov_b32_e32 v20, v22
	v_pk_mul_f32 v[22:23], v[114:115], s[8:9] op_sel:[1,0] op_sel_hi:[0,0]
	v_accvgpr_write_b32 a187, v53
	v_accvgpr_write_b32 a186, v48
	v_mov_b32_e32 v21, v49
	v_pk_fma_f32 v[48:49], v[112:113], s[74:75], v[22:23] op_sel_hi:[1,0,1]
	v_pk_fma_f32 v[52:53], v[112:113], s[74:75], v[22:23] op_sel_hi:[1,0,1] neg_lo:[0,0,1] neg_hi:[0,0,1]
	v_pk_mul_f32 v[74:75], v[114:115], s[20:21] op_sel:[1,0] op_sel_hi:[0,0]
	v_accvgpr_write_b32 a207, v49
	v_mov_b32_e32 v22, v48
	v_accvgpr_write_b32 a182, v52
	v_mov_b32_e32 v23, v53
	v_pk_fma_f32 v[48:49], v[112:113], s[50:51], v[74:75] op_sel_hi:[1,0,1]
	v_pk_fma_f32 v[52:53], v[112:113], s[50:51], v[74:75] op_sel_hi:[1,0,1] neg_lo:[0,0,1] neg_hi:[0,0,1]
	v_mov_b32_e32 v74, v48
	v_mov_b32_e32 v75, v53
	v_accvgpr_write_b32 a99, v131
	v_pk_add_f32 v[130:131], v[74:75], v[80:81]
	v_mov_b32_e32 v74, v168
	v_mov_b32_e32 v75, v57
	v_pk_mul_f32 v[8:9], v[8:9], s[50:51]
	s_mov_b32 s70, s9
	s_mov_b32 s71, s34
	v_accvgpr_write_b32 a105, v141
	v_pk_add_f32 v[22:23], v[22:23], v[76:77]
	v_pk_add_f32 v[140:141], v[74:75], v[82:83]
	v_pk_fma_f32 v[74:75], v[92:93], s[20:21], v[8:9] neg_lo:[1,0,0] neg_hi:[1,0,0]
	v_pk_fma_f32 v[76:77], v[92:93], s[20:21], v[8:9]
	s_mov_b32 s35, s9
	v_pk_mul_f32 v[2:3], v[2:3], s[70:71]
	v_pk_add_f32 v[20:21], v[20:21], v[78:79]
	v_mov_b32_e32 v75, v77
	v_pk_fma_f32 v[0:1], v[0:1], s[34:35], v[2:3] op_sel:[1,0,0] op_sel_hi:[0,1,1] neg_lo:[1,0,0] neg_hi:[1,0,0]
	v_pk_fma_f32 v[78:79], v[102:103], s[34:35], v[2:3]
	v_pk_mul_f32 v[6:7], v[6:7], s[28:29] op_sel_hi:[1,0]
	v_mov_b32_e32 v1, v79
	v_pk_fma_f32 v[80:81], v[4:5], s[76:77], v[6:7] op_sel:[0,0,1] op_sel_hi:[1,0,0] neg_lo:[0,0,1] neg_hi:[0,0,1]
	v_pk_fma_f32 v[4:5], v[4:5], s[76:77], v[6:7] op_sel:[0,0,1] op_sel_hi:[1,0,0]
	v_pk_add_f32 v[74:75], v[74:75], v[44:45]
	v_mov_b32_e32 v6, v80
	v_mov_b32_e32 v7, v5
	v_pk_add_f32 v[0:1], v[0:1], v[74:75]
	v_pk_fma_f32 v[2:3], v[102:103], s[34:35], v[2:3] neg_lo:[0,0,1] neg_hi:[0,0,1]
	v_pk_add_f32 v[0:1], v[6:7], v[0:1]
	v_pk_fma_f32 v[6:7], v[92:93], s[20:21], v[8:9] neg_lo:[0,0,1] neg_hi:[0,0,1]
	v_pk_mul_f32 v[82:83], v[90:91], s[38:39] op_sel:[1,0] op_sel_hi:[0,0]
	v_mov_b32_e32 v77, v7
	v_mov_b32_e32 v79, v3
	v_pk_add_f32 v[2:3], v[76:77], v[44:45]
	v_pk_fma_f32 v[86:87], v[10:11], s[72:73], v[82:83] op_sel_hi:[1,0,1] neg_lo:[0,0,1] neg_hi:[0,0,1]
	v_pk_fma_f32 v[10:11], v[10:11], s[72:73], v[82:83] op_sel_hi:[1,0,1]
	v_pk_mul_f32 v[88:89], v[100:101], s[18:19] op_sel:[1,0] op_sel_hi:[0,0]
	v_mov_b32_e32 v5, v81
	v_pk_add_f32 v[2:3], v[78:79], v[2:3]
	v_mov_b32_e32 v82, v86
	v_mov_b32_e32 v83, v11
	v_pk_fma_f32 v[90:91], v[96:97], s[78:79], v[88:89] op_sel_hi:[1,0,1] neg_lo:[0,0,1] neg_hi:[0,0,1]
	v_pk_fma_f32 v[88:89], v[96:97], s[78:79], v[88:89] op_sel_hi:[1,0,1]
	v_pk_mul_f32 v[96:97], v[108:109], s[30:31] op_sel:[1,0] op_sel_hi:[0,0]
	v_mov_b32_e32 v11, v87
	v_pk_add_f32 v[2:3], v[4:5], v[2:3]
	v_accvgpr_write_b32 a96, v106
	v_mov_b32_e32 v94, v90
	v_mov_b32_e32 v95, v89
	v_pk_fma_f32 v[100:101], v[104:105], s[68:69], v[96:97] op_sel_hi:[1,0,1] neg_lo:[0,0,1] neg_hi:[0,0,1]
	v_pk_fma_f32 v[96:97], v[104:105], s[68:69], v[96:97] op_sel_hi:[1,0,1]
	v_pk_mul_f32 v[106:107], v[114:115], s[22:23] op_sel:[1,0] op_sel_hi:[0,0]
	v_pk_add_f32 v[0:1], v[82:83], v[0:1]
	v_mov_b32_e32 v89, v91
	v_pk_add_f32 v[2:3], v[10:11], v[2:3]
	v_mov_b32_e32 v104, v100
	v_mov_b32_e32 v105, v97
	v_pk_fma_f32 v[108:109], v[112:113], s[48:49], v[106:107] op_sel_hi:[1,0,1] neg_lo:[0,0,1] neg_hi:[0,0,1]
	v_pk_fma_f32 v[106:107], v[112:113], s[48:49], v[106:107] op_sel_hi:[1,0,1]
	v_pk_add_f32 v[0:1], v[94:95], v[0:1]
	v_mov_b32_e32 v97, v101
	v_pk_add_f32 v[2:3], v[88:89], v[2:3]
	v_mov_b32_e32 v112, v108
	v_mov_b32_e32 v113, v107
	v_pk_add_f32 v[0:1], v[104:105], v[0:1]
	v_pk_add_f32 v[4:5], v[96:97], v[2:3]
	v_mov_b32_e32 v107, v109
	v_pk_add_f32 v[2:3], v[112:113], v[0:1]
	v_pk_add_f32 v[0:1], v[106:107], v[4:5]
	v_pk_mul_f32 v[4:5], v[12:13], s[20:21] op_sel:[1,0] op_sel_hi:[0,0]
	v_pk_fma_f32 v[6:7], v[14:15], s[50:51], v[4:5] op_sel_hi:[1,0,1]
	v_pk_fma_f32 v[8:9], v[14:15], s[50:51], v[4:5] op_sel_hi:[1,0,1] neg_lo:[0,0,1] neg_hi:[0,0,1]
	v_mov_b32_e32 v4, v6
	v_mov_b32_e32 v5, v9
	v_pk_add_f32 v[4:5], v[4:5], v[84:85]
	v_accvgpr_write_b32 a217, v7
	v_accvgpr_write_b32 a41, v5
	;; [unrolled: 1-line block ×3, first 2 shown]
	v_pk_mul_f32 v[4:5], v[12:13], s[34:35] op_sel:[1,0] op_sel_hi:[0,0]
	v_accvgpr_write_b32 a192, v8
	v_pk_fma_f32 v[6:7], v[14:15], s[74:75], v[4:5] op_sel_hi:[1,0,1]
	v_pk_fma_f32 v[8:9], v[14:15], s[74:75], v[4:5] op_sel_hi:[1,0,1] neg_lo:[0,0,1] neg_hi:[0,0,1]
	v_mov_b32_e32 v4, v6
	v_mov_b32_e32 v5, v9
	v_accvgpr_write_b32 a221, v7
	v_pk_add_f32 v[6:7], v[4:5], v[50:51]
	v_pk_mul_f32 v[4:5], v[12:13], s[28:29] op_sel:[1,0] op_sel_hi:[0,0]
	v_accvgpr_write_b32 a196, v8
	v_pk_fma_f32 v[8:9], v[14:15], s[76:77], v[4:5] op_sel_hi:[1,0,1]
	v_pk_fma_f32 v[10:11], v[14:15], s[76:77], v[4:5] op_sel_hi:[1,0,1] neg_lo:[0,0,1] neg_hi:[0,0,1]
	v_mov_b32_e32 v4, v8
	v_mov_b32_e32 v5, v11
	v_pk_add_f32 v[4:5], v[4:5], v[72:73]
	v_accvgpr_write_b32 a219, v9
	v_accvgpr_write_b32 a45, v7
	;; [unrolled: 1-line block ×5, first 2 shown]
	v_pk_mul_f32 v[4:5], v[12:13], s[38:39] op_sel:[1,0] op_sel_hi:[0,0]
	v_pk_fma_f32 v[6:7], v[14:15], s[72:73], v[4:5] op_sel_hi:[1,0,1]
	v_pk_fma_f32 v[8:9], v[14:15], s[72:73], v[4:5] op_sel_hi:[1,0,1] neg_lo:[0,0,1] neg_hi:[0,0,1]
	v_mov_b32_e32 v4, v6
	v_mov_b32_e32 v5, v9
	v_accvgpr_write_b32 a225, v7
	v_pk_add_f32 v[6:7], v[4:5], v[20:21]
	v_pk_mul_f32 v[4:5], v[12:13], s[18:19] op_sel:[1,0] op_sel_hi:[0,0]
	v_accvgpr_write_b32 a194, v10
	v_accvgpr_write_b32 a200, v8
	v_pk_fma_f32 v[8:9], v[14:15], s[78:79], v[4:5] op_sel_hi:[1,0,1]
	v_pk_fma_f32 v[10:11], v[14:15], s[78:79], v[4:5] op_sel_hi:[1,0,1] neg_lo:[0,0,1] neg_hi:[0,0,1]
	v_mov_b32_e32 v4, v8
	v_mov_b32_e32 v5, v11
	v_pk_add_f32 v[4:5], v[4:5], v[22:23]
	v_accvgpr_write_b32 a223, v9
	v_accvgpr_write_b32 a49, v7
	;; [unrolled: 1-line block ×5, first 2 shown]
	v_pk_mul_f32 v[4:5], v[12:13], s[30:31] op_sel:[1,0] op_sel_hi:[0,0]
	v_pk_fma_f32 v[6:7], v[14:15], s[68:69], v[4:5] op_sel_hi:[1,0,1]
	v_pk_fma_f32 v[8:9], v[14:15], s[68:69], v[4:5] op_sel_hi:[1,0,1] neg_lo:[0,0,1] neg_hi:[0,0,1]
	v_mov_b32_e32 v4, v6
	v_mov_b32_e32 v5, v9
	v_accvgpr_write_b32 a229, v7
	v_pk_add_f32 v[6:7], v[4:5], v[130:131]
	v_pk_mul_f32 v[4:5], v[12:13], s[22:23] op_sel:[1,0] op_sel_hi:[0,0]
	v_accvgpr_write_b32 a198, v10
	v_accvgpr_write_b32 a204, v8
	v_pk_fma_f32 v[8:9], v[14:15], s[48:49], v[4:5] op_sel_hi:[1,0,1]
	v_pk_fma_f32 v[10:11], v[14:15], s[48:49], v[4:5] op_sel_hi:[1,0,1] neg_lo:[0,0,1] neg_hi:[0,0,1]
	v_mov_b32_e32 v4, v8
	v_mov_b32_e32 v5, v11
	v_pk_add_f32 v[4:5], v[4:5], v[140:141]
	v_accvgpr_write_b32 a227, v9
	v_accvgpr_write_b32 a53, v7
	;; [unrolled: 1-line block ×5, first 2 shown]
	v_pk_mul_f32 v[4:5], v[14:15], s[66:67] op_sel_hi:[1,0]
	v_accvgpr_write_b32 a130, v154
	v_pk_fma_f32 v[6:7], v[12:13], s[40:41], v[4:5] op_sel:[1,0,0] op_sel_hi:[0,0,1] neg_lo:[1,0,0] neg_hi:[1,0,0]
	v_pk_fma_f32 v[4:5], v[12:13], s[40:41], v[4:5] op_sel:[1,0,0] op_sel_hi:[0,0,1]
	v_mov_b32_e32 v9, v5
	v_mov_b32_e32 v5, v7
	v_mov_b32_e32 v8, v6
	v_pk_add_f32 v[4:5], v[4:5], v[0:1]
	v_accvgpr_write_b32 a131, v155
	v_pk_add_f32 v[2:3], v[8:9], v[2:3]
	v_mov_b32_e32 v155, v247
	v_accvgpr_write_b32 a57, v5
	v_mov_b32_e32 v247, v16
	v_accvgpr_write_b32 a132, v158
	v_accvgpr_write_b32 a56, v4
	;; [unrolled: 1-line block ×4, first 2 shown]
	v_mov_b32_e32 v154, v17
	v_pk_mul_f32 v[4:5], v[246:247], s[44:45]
	v_mov_b32_e32 v53, v245
	v_mov_b32_e32 v245, v178
	v_accvgpr_write_b32 a133, v159
	v_accvgpr_write_b32 a137, v59
	;; [unrolled: 1-line block ×3, first 2 shown]
	v_mul_lo_u16_e32 v0, 17, v98
	v_pk_fma_f32 v[2:3], v[154:155], s[8:9], v[4:5] neg_lo:[1,0,0] neg_hi:[1,0,0]
	v_pk_fma_f32 v[158:159], v[154:155], s[8:9], v[4:5]
	v_accvgpr_write_b32 a245, v5
	v_mov_b32_e32 v52, v179
	v_pk_mul_f32 v[6:7], v[244:245], s[54:55]
	v_accvgpr_write_b32 a136, v58
	v_lshl_add_u32 v211, v0, 3, v116
	v_pk_add_f32 v[0:1], v[170:171], v[34:35]
	v_accvgpr_write_b32 a244, v4
	v_mov_b32_e32 v3, v159
	v_pk_fma_f32 v[4:5], v[52:53], s[10:11], v[6:7] neg_lo:[1,0,0] neg_hi:[1,0,0]
	v_pk_fma_f32 v[12:13], v[52:53], s[10:11], v[6:7]
	v_accvgpr_write_b32 a231, v7
	v_mov_b32_e32 v59, v19
	v_mov_b32_e32 v19, v24
	v_pk_add_f32 v[0:1], v[0:1], v[36:37]
	v_pk_add_f32 v[2:3], v[156:157], v[2:3]
	v_accvgpr_write_b32 a230, v6
	v_mov_b32_e32 v5, v13
	v_mov_b32_e32 v58, v25
	v_pk_mul_f32 v[6:7], v[18:19], s[60:61]
	v_pk_add_f32 v[192:193], v[66:67], v[64:65]
	v_pk_add_f32 v[42:43], v[64:65], v[66:67] neg_lo:[0,1] neg_hi:[0,1]
	v_accvgpr_write_b32 a92, v60
	v_pk_add_f32 v[0:1], v[0:1], v[64:65]
	v_pk_add_f32 v[2:3], v[4:5], v[2:3]
	v_pk_fma_f32 v[4:5], v[58:59], s[16:17], v[6:7] neg_lo:[1,0,0] neg_hi:[1,0,0]
	v_pk_fma_f32 v[60:61], v[58:59], s[16:17], v[6:7]
	v_accvgpr_write_b32 a233, v7
	v_mov_b32_e32 v65, v243
	v_mov_b32_e32 v243, v110
	v_accvgpr_write_b32 a232, v6
	v_mov_b32_e32 v5, v61
	v_mov_b32_e32 v64, v111
	v_pk_mul_f32 v[6:7], v[242:243], s[52:53]
	v_pk_add_f32 v[0:1], v[0:1], v[66:67]
	v_pk_add_f32 v[2:3], v[4:5], v[2:3]
	v_pk_fma_f32 v[4:5], v[64:65], s[14:15], v[6:7] neg_lo:[1,0,0] neg_hi:[1,0,0]
	v_pk_fma_f32 v[66:67], v[64:65], s[14:15], v[6:7]
	v_accvgpr_write_b32 a235, v7
	v_mov_b32_e32 v71, v63
	v_mov_b32_e32 v63, v142
	v_pk_add_f32 v[228:229], v[32:33], v[34:35]
	v_pk_add_f32 v[234:235], v[34:35], v[32:33] neg_lo:[0,1] neg_hi:[0,1]
	v_accvgpr_write_b32 a94, v70
	v_accvgpr_write_b32 a234, v6
	v_mov_b32_e32 v5, v67
	v_mov_b32_e32 v70, v143
	v_pk_mul_f32 v[6:7], v[62:63], s[48:49]
	v_pk_add_f32 v[2:3], v[4:5], v[2:3]
	v_pk_fma_f32 v[4:5], v[70:71], s[22:23], v[6:7] neg_lo:[1,0,0] neg_hi:[1,0,0]
	v_pk_fma_f32 v[110:111], v[70:71], s[22:23], v[6:7]
	v_accvgpr_write_b32 a237, v7
	v_mov_b32_e32 v179, v229
	v_mov_b32_e32 v229, v234
	v_pk_add_f32 v[68:69], v[30:31], v[36:37]
	v_pk_add_f32 v[144:145], v[36:37], v[30:31] neg_lo:[0,1] neg_hi:[0,1]
	v_accvgpr_write_b32 a236, v6
	v_mov_b32_e32 v5, v111
	v_mov_b32_e32 v178, v235
	v_pk_mul_f32 v[6:7], v[228:229], s[46:47]
	v_pk_add_f32 v[0:1], v[0:1], v[30:31]
	v_pk_add_f32 v[2:3], v[4:5], v[2:3]
	v_pk_fma_f32 v[4:5], v[178:179], s[18:19], v[6:7] neg_lo:[1,0,0] neg_hi:[1,0,0]
	v_pk_fma_f32 v[140:141], v[178:179], s[18:19], v[6:7]
	v_accvgpr_write_b32 a239, v7
	v_mov_b32_e32 v143, v69
	v_mov_b32_e32 v69, v144
	v_pk_add_f32 v[0:1], v[0:1], v[32:33]
	v_accvgpr_write_b32 a238, v6
	v_mov_b32_e32 v5, v141
	v_mov_b32_e32 v142, v145
	v_pk_mul_f32 v[6:7], v[68:69], s[58:59]
	v_accvgpr_write_b32 a123, v149
	v_pk_add_f32 v[0:1], v[0:1], v[26:27]
	v_pk_add_f32 v[2:3], v[4:5], v[2:3]
	v_pk_fma_f32 v[4:5], v[142:143], s[28:29], v[6:7] neg_lo:[1,0,0] neg_hi:[1,0,0]
	v_pk_fma_f32 v[144:145], v[142:143], s[28:29], v[6:7]
	v_accvgpr_write_b32 a241, v7
	v_mov_b32_e32 v149, v193
	v_mov_b32_e32 v193, v42
	v_accvgpr_write_b32 a126, v150
	v_pk_add_f32 v[0:1], v[0:1], v[28:29]
	v_accvgpr_write_b32 a240, v6
	v_mov_b32_e32 v5, v145
	v_mov_b32_e32 v148, v43
	v_pk_mul_f32 v[6:7], v[192:193], s[50:51]
	v_accvgpr_write_b32 a127, v151
	v_pk_add_f32 v[0:1], v[0:1], v[38:39]
	v_pk_add_f32 v[2:3], v[4:5], v[2:3]
	v_pk_fma_f32 v[4:5], v[148:149], s[20:21], v[6:7] neg_lo:[1,0,0] neg_hi:[1,0,0]
	v_pk_fma_f32 v[150:151], v[148:149], s[20:21], v[6:7]
	v_pk_add_f32 v[0:1], v[0:1], v[40:41]
	v_mov_b32_e32 v5, v151
	v_pk_add_f32 v[0:1], v[0:1], v[218:219]
	v_pk_add_f32 v[2:3], v[4:5], v[2:3]
	s_waitcnt lgkmcnt(0)
	; wave barrier
	ds_write2_b64 v211, v[0:1], v[2:3] offset1:1
	v_pk_mul_f32 v[2:3], v[246:247], s[54:55]
	v_accvgpr_write_b32 a202, v10
	v_accvgpr_write_b32 a243, v7
	v_pk_fma_f32 v[0:1], v[154:155], s[10:11], v[2:3] neg_lo:[1,0,0] neg_hi:[1,0,0]
	v_pk_fma_f32 v[10:11], v[154:155], s[10:11], v[2:3]
	v_accvgpr_write_b32 a242, v6
	v_accvgpr_write_b32 a251, v3
	v_mov_b32_e32 v1, v11
	v_pk_mul_f32 v[6:7], v[244:245], s[52:53]
	v_accvgpr_write_b32 a250, v2
	v_pk_add_f32 v[2:3], v[156:157], v[0:1]
	v_pk_fma_f32 v[4:5], v[52:53], s[14:15], v[6:7] neg_lo:[1,0,0] neg_hi:[1,0,0]
	v_pk_fma_f32 v[0:1], v[52:53], s[14:15], v[6:7]
	v_accvgpr_write_b32 a135, v163
	v_mov_b32_e32 v5, v1
	v_pk_add_f32 v[8:9], v[4:5], v[2:3]
	v_pk_mul_f32 v[4:5], v[18:19], s[46:47]
	v_accvgpr_write_b32 a145, v167
	v_pk_fma_f32 v[14:15], v[58:59], s[18:19], v[4:5] neg_lo:[1,0,0] neg_hi:[1,0,0]
	v_pk_fma_f32 v[2:3], v[58:59], s[18:19], v[4:5]
	v_accvgpr_write_b32 a247, v5
	v_accvgpr_write_b32 a246, v4
	v_mov_b32_e32 v15, v3
	v_pk_mul_f32 v[4:5], v[242:243], s[50:51]
	v_pk_add_f32 v[20:21], v[14:15], v[8:9]
	v_pk_fma_f32 v[22:23], v[64:65], s[20:21], v[4:5] neg_lo:[1,0,0] neg_hi:[1,0,0]
	v_pk_fma_f32 v[8:9], v[64:65], s[20:21], v[4:5]
	v_accvgpr_write_b32 a253, v5
	v_accvgpr_write_b32 a252, v4
	v_mov_b32_e32 v23, v9
	v_pk_mul_f32 v[4:5], v[62:63], s[64:65]
	v_pk_add_f32 v[20:21], v[22:23], v[20:21]
	;; [unrolled: 7-line block ×3, first 2 shown]
	v_pk_fma_f32 v[22:23], v[178:179], s[26:27], v[4:5] neg_lo:[1,0,0] neg_hi:[1,0,0]
	v_pk_fma_f32 v[166:167], v[178:179], s[26:27], v[4:5]
	v_pk_mul_f32 v[172:173], v[68:69], s[56:57]
	v_mov_b32_e32 v23, v167
	v_pk_add_f32 v[20:21], v[22:23], v[20:21]
	v_pk_fma_f32 v[22:23], v[142:143], s[30:31], v[172:173] neg_lo:[1,0,0] neg_hi:[1,0,0]
	v_pk_fma_f32 v[170:171], v[142:143], s[30:31], v[172:173]
	v_pk_mul_f32 v[186:187], v[192:193], s[70:71]
	v_mov_b32_e32 v23, v171
	v_pk_add_f32 v[20:21], v[22:23], v[20:21]
	;; [unrolled: 5-line block ×3, first 2 shown]
	v_pk_fma_f32 v[22:23], v[154:155], s[16:17], v[232:233] neg_lo:[1,0,0] neg_hi:[1,0,0]
	v_pk_fma_f32 v[224:225], v[154:155], s[16:17], v[232:233]
	v_pk_mul_f32 v[222:223], v[244:245], s[46:47]
	v_mov_b32_e32 v23, v225
	v_pk_fma_f32 v[50:51], v[52:53], s[18:19], v[222:223] neg_lo:[1,0,0] neg_hi:[1,0,0]
	v_pk_fma_f32 v[218:219], v[52:53], s[18:19], v[222:223]
	s_mov_b32 s66, s50
	s_mov_b32 s67, s36
	v_pk_add_f32 v[22:23], v[156:157], v[22:23]
	v_mov_b32_e32 v51, v219
	s_mov_b32 s37, s50
	v_pk_mul_f32 v[250:251], v[18:19], s[66:67]
	v_pk_add_f32 v[22:23], v[50:51], v[22:23]
	v_pk_fma_f32 v[50:51], v[58:59], s[36:37], v[250:251] neg_lo:[1,0,0] neg_hi:[1,0,0]
	v_pk_fma_f32 v[234:235], v[58:59], s[36:37], v[250:251]
	v_accvgpr_write_b32 a149, v169
	v_mov_b32_e32 v51, v235
	v_pk_mul_f32 v[168:169], v[242:243], s[62:63]
	v_accvgpr_write_b32 a138, v164
	v_pk_add_f32 v[22:23], v[50:51], v[22:23]
	v_pk_fma_f32 v[50:51], v[64:65], s[26:27], v[168:169] neg_lo:[1,0,0] neg_hi:[1,0,0]
	v_pk_fma_f32 v[182:183], v[64:65], s[26:27], v[168:169]
	s_mov_b32 s66, s11
	s_mov_b32 s67, s38
	v_accvgpr_write_b32 a139, v165
	v_mov_b32_e32 v51, v183
	s_mov_b32 s39, s11
	v_pk_mul_f32 v[164:165], v[62:63], s[66:67]
	v_accvgpr_write_b32 a112, v128
	v_pk_add_f32 v[22:23], v[50:51], v[22:23]
	v_pk_fma_f32 v[50:51], v[70:71], s[38:39], v[164:165] neg_lo:[1,0,0] neg_hi:[1,0,0]
	v_pk_fma_f32 v[96:97], v[70:71], s[38:39], v[164:165]
	v_accvgpr_write_b32 a113, v129
	v_mov_b32_e32 v51, v97
	v_pk_mul_f32 v[128:129], v[228:229], s[44:45]
	v_pk_add_f32 v[22:23], v[50:51], v[22:23]
	v_pk_fma_f32 v[50:51], v[178:179], s[8:9], v[128:129] neg_lo:[1,0,0] neg_hi:[1,0,0]
	v_pk_fma_f32 v[112:113], v[178:179], s[8:9], v[128:129]
	v_accvgpr_write_b32 a101, v133
	v_mov_b32_e32 v51, v113
	v_pk_mul_f32 v[132:133], v[68:69], s[52:53]
	v_pk_add_f32 v[22:23], v[50:51], v[22:23]
	v_pk_fma_f32 v[50:51], v[142:143], s[14:15], v[132:133] neg_lo:[1,0,0] neg_hi:[1,0,0]
	v_pk_fma_f32 v[72:73], v[142:143], s[14:15], v[132:133]
	v_pk_mul_f32 v[104:105], v[192:193], s[58:59]
	v_mov_b32_e32 v51, v73
	v_pk_add_f32 v[22:23], v[50:51], v[22:23]
	v_pk_fma_f32 v[50:51], v[148:149], s[28:29], v[104:105] neg_lo:[1,0,0] neg_hi:[1,0,0]
	v_pk_fma_f32 v[214:215], v[148:149], s[28:29], v[104:105]
	v_pk_mul_f32 v[82:83], v[246:247], s[52:53]
	v_mov_b32_e32 v51, v215
	v_pk_add_f32 v[22:23], v[50:51], v[22:23]
	ds_write2_b64 v211, v[20:21], v[22:23] offset0:2 offset1:3
	v_pk_fma_f32 v[20:21], v[154:155], s[14:15], v[82:83] neg_lo:[1,0,0] neg_hi:[1,0,0]
	v_pk_fma_f32 v[80:81], v[154:155], s[14:15], v[82:83]
	v_pk_mul_f32 v[76:77], v[244:245], s[50:51]
	v_mov_b32_e32 v21, v81
	v_pk_add_f32 v[22:23], v[156:157], v[20:21]
	v_pk_fma_f32 v[50:51], v[52:53], s[20:21], v[76:77] neg_lo:[1,0,0] neg_hi:[1,0,0]
	v_pk_fma_f32 v[20:21], v[52:53], s[20:21], v[76:77]
	v_pk_mul_f32 v[74:75], v[18:19], s[62:63]
	v_mov_b32_e32 v51, v21
	v_pk_add_f32 v[78:79], v[50:51], v[22:23]
	v_pk_fma_f32 v[84:85], v[58:59], s[26:27], v[74:75] neg_lo:[1,0,0] neg_hi:[1,0,0]
	v_pk_fma_f32 v[22:23], v[58:59], s[26:27], v[74:75]
	v_accvgpr_write_b32 a100, v120
	v_mov_b32_e32 v85, v23
	v_pk_add_f32 v[86:87], v[84:85], v[78:79]
	v_pk_mul_f32 v[84:85], v[242:243], s[70:71]
	v_pk_mul_f32 v[120:121], v[62:63], s[60:61]
	v_pk_fma_f32 v[88:89], v[64:65], s[34:35], v[84:85] neg_lo:[1,0,0] neg_hi:[1,0,0]
	v_pk_fma_f32 v[78:79], v[64:65], s[34:35], v[84:85]
	v_pk_fma_f32 v[94:95], v[70:71], s[16:17], v[120:121] neg_lo:[1,0,0] neg_hi:[1,0,0]
	v_mov_b32_e32 v89, v79
	v_pk_add_f32 v[88:89], v[88:89], v[86:87]
	v_pk_fma_f32 v[86:87], v[70:71], s[16:17], v[120:121]
	v_pk_mul_f32 v[50:51], v[228:229], s[58:59]
	v_mov_b32_e32 v95, v87
	v_accvgpr_write_b32 a102, v122
	v_pk_add_f32 v[88:89], v[94:95], v[88:89]
	v_pk_fma_f32 v[94:95], v[178:179], s[28:29], v[50:51] neg_lo:[1,0,0] neg_hi:[1,0,0]
	v_pk_fma_f32 v[122:123], v[178:179], s[28:29], v[50:51]
	s_mov_b32 s68, s19
	s_mov_b32 s69, s42
	v_mov_b32_e32 v95, v123
	s_mov_b32 s43, s19
	v_pk_mul_f32 v[14:15], v[68:69], s[68:69]
	v_pk_add_f32 v[88:89], v[94:95], v[88:89]
	v_pk_fma_f32 v[94:95], v[142:143], s[42:43], v[14:15] neg_lo:[1,0,0] neg_hi:[1,0,0]
	v_pk_fma_f32 v[252:253], v[142:143], s[42:43], v[14:15]
	v_accvgpr_write_b32 a120, v136
	v_mov_b32_e32 v95, v253
	v_pk_mul_f32 v[198:199], v[192:193], s[66:67]
	v_accvgpr_write_b32 a121, v137
	v_accvgpr_write_b32 a249, v7
	v_pk_add_f32 v[88:89], v[94:95], v[88:89]
	v_pk_fma_f32 v[94:95], v[148:149], s[38:39], v[198:199] neg_lo:[1,0,0] neg_hi:[1,0,0]
	v_pk_fma_f32 v[136:137], v[148:149], s[38:39], v[198:199]
	v_accvgpr_write_b32 a0, v98
	v_accvgpr_write_b32 a248, v6
	v_mov_b32_e32 v95, v137
	v_pk_mul_f32 v[6:7], v[246:247], s[48:49]
	v_accvgpr_write_b32 a125, v161
	v_accvgpr_write_b32 a1, v99
	v_pk_add_f32 v[98:99], v[94:95], v[88:89]
	v_pk_fma_f32 v[88:89], v[154:155], s[22:23], v[6:7] neg_lo:[1,0,0] neg_hi:[1,0,0]
	v_pk_fma_f32 v[160:161], v[154:155], s[22:23], v[6:7]
	v_pk_mul_f32 v[216:217], v[244:245], s[64:65]
	v_mov_b32_e32 v89, v161
	v_pk_fma_f32 v[94:95], v[52:53], s[24:25], v[216:217] neg_lo:[1,0,0] neg_hi:[1,0,0]
	v_pk_fma_f32 v[204:205], v[52:53], s[24:25], v[216:217]
	v_pk_add_f32 v[88:89], v[156:157], v[88:89]
	v_mov_b32_e32 v95, v205
	v_pk_mul_f32 v[208:209], v[18:19], s[66:67]
	v_accvgpr_write_b32 a4, v4
	v_pk_add_f32 v[88:89], v[94:95], v[88:89]
	v_pk_fma_f32 v[94:95], v[58:59], s[38:39], v[208:209] neg_lo:[1,0,0] neg_hi:[1,0,0]
	v_pk_fma_f32 v[206:207], v[58:59], s[38:39], v[208:209]
	v_accvgpr_write_b32 a5, v5
	v_mov_b32_e32 v95, v207
	v_pk_mul_f32 v[4:5], v[242:243], s[60:61]
	v_accvgpr_write_b32 a103, v139
	v_pk_add_f32 v[88:89], v[94:95], v[88:89]
	v_pk_fma_f32 v[94:95], v[64:65], s[16:17], v[4:5] neg_lo:[1,0,0] neg_hi:[1,0,0]
	v_pk_fma_f32 v[138:139], v[64:65], s[16:17], v[4:5]
	s_mov_b32 s60, s15
	v_mov_b32_e32 v95, v139
	v_pk_add_f32 v[94:95], v[94:95], v[88:89]
	v_pk_mul_f32 v[88:89], v[62:63], s[50:51]
	s_mov_b32 s61, s40
	v_pk_fma_f32 v[106:107], v[70:71], s[20:21], v[88:89] neg_lo:[1,0,0] neg_hi:[1,0,0]
	v_pk_fma_f32 v[254:255], v[70:71], s[20:21], v[88:89]
	v_accvgpr_write_b32 a29, v116
	v_mov_b32_e32 v107, v255
	v_pk_add_f32 v[116:117], v[106:107], v[94:95]
	s_mov_b32 s41, s15
	v_pk_mul_f32 v[106:107], v[228:229], s[60:61]
	v_accvgpr_write_b32 a98, v118
	v_pk_fma_f32 v[188:189], v[178:179], s[40:41], v[106:107] neg_lo:[1,0,0] neg_hi:[1,0,0]
	v_pk_fma_f32 v[94:95], v[178:179], s[40:41], v[106:107]
	v_accvgpr_write_b32 a97, v127
	v_mov_b32_e32 v189, v95
	v_pk_add_f32 v[194:195], v[188:189], v[116:117]
	v_pk_mul_f32 v[188:189], v[68:69], s[44:45]
	v_pk_mul_f32 v[180:181], v[244:245], s[62:63]
	v_pk_fma_f32 v[200:201], v[142:143], s[8:9], v[188:189] neg_lo:[1,0,0] neg_hi:[1,0,0]
	v_pk_fma_f32 v[116:117], v[142:143], s[8:9], v[188:189]
	v_pk_fma_f32 v[196:197], v[52:53], s[26:27], v[180:181] neg_lo:[1,0,0] neg_hi:[1,0,0]
	v_mov_b32_e32 v201, v117
	v_pk_add_f32 v[118:119], v[200:201], v[194:195]
	v_pk_mul_f32 v[200:201], v[192:193], s[46:47]
	v_pk_fma_f32 v[212:213], v[52:53], s[26:27], v[180:181]
	v_pk_fma_f32 v[194:195], v[148:149], s[18:19], v[200:201] neg_lo:[1,0,0] neg_hi:[1,0,0]
	v_pk_fma_f32 v[126:127], v[148:149], s[18:19], v[200:201]
	v_mov_b32_e32 v197, v213
	v_mov_b32_e32 v195, v127
	v_pk_add_f32 v[118:119], v[194:195], v[118:119]
	ds_write2_b64 v211, v[98:99], v[118:119] offset0:4 offset1:5
	v_pk_mul_f32 v[98:99], v[246:247], s[46:47]
	v_accvgpr_write_b32 a61, v47
	v_pk_fma_f32 v[118:119], v[154:155], s[18:19], v[98:99] neg_lo:[1,0,0] neg_hi:[1,0,0]
	v_pk_fma_f32 v[194:195], v[154:155], s[18:19], v[98:99]
	v_accvgpr_write_b32 a60, v46
	v_mov_b32_e32 v119, v195
	v_pk_add_f32 v[118:119], v[156:157], v[118:119]
	v_accvgpr_write_b32 a59, v45
	v_pk_add_f32 v[118:119], v[196:197], v[118:119]
	v_pk_mul_f32 v[196:197], v[18:19], s[44:45]
	v_accvgpr_write_b32 a58, v44
	v_pk_fma_f32 v[24:25], v[58:59], s[8:9], v[196:197] neg_lo:[1,0,0] neg_hi:[1,0,0]
	v_pk_fma_f32 v[26:27], v[58:59], s[8:9], v[196:197]
	v_pk_mul_f32 v[100:101], v[244:245], s[56:57]
	v_mov_b32_e32 v25, v27
	v_pk_add_f32 v[24:25], v[24:25], v[118:119]
	v_pk_mul_f32 v[118:119], v[242:243], s[58:59]
	v_pk_fma_f32 v[108:109], v[52:53], s[30:31], v[100:101] neg_lo:[1,0,0] neg_hi:[1,0,0]
	v_pk_fma_f32 v[28:29], v[64:65], s[28:29], v[118:119] neg_lo:[1,0,0] neg_hi:[1,0,0]
	v_pk_fma_f32 v[30:31], v[64:65], s[28:29], v[118:119]
	v_pk_fma_f32 v[114:115], v[52:53], s[30:31], v[100:101]
	v_mov_b32_e32 v29, v31
	v_pk_add_f32 v[24:25], v[28:29], v[24:25]
	v_pk_mul_f32 v[28:29], v[62:63], s[60:61]
	v_mov_b32_e32 v109, v115
	v_pk_fma_f32 v[32:33], v[70:71], s[40:41], v[28:29] neg_lo:[1,0,0] neg_hi:[1,0,0]
	v_pk_fma_f32 v[34:35], v[70:71], s[40:41], v[28:29]
	v_accvgpr_write_b32 a128, v152
	v_mov_b32_e32 v33, v35
	v_pk_add_f32 v[24:25], v[32:33], v[24:25]
	v_pk_mul_f32 v[32:33], v[228:229], s[54:55]
	v_accvgpr_write_b32 a129, v153
	v_pk_fma_f32 v[36:37], v[178:179], s[10:11], v[32:33] neg_lo:[1,0,0] neg_hi:[1,0,0]
	v_pk_fma_f32 v[38:39], v[178:179], s[10:11], v[32:33]
	v_accvgpr_write_b32 a104, v124
	v_mov_b32_e32 v37, v39
	v_pk_add_f32 v[24:25], v[36:37], v[24:25]
	v_pk_mul_f32 v[36:37], v[68:69], s[50:51]
	v_accvgpr_write_b32 a115, v147
	;; [unrolled: 7-line block ×3, first 2 shown]
	v_pk_fma_f32 v[44:45], v[148:149], s[30:31], v[40:41] neg_lo:[1,0,0] neg_hi:[1,0,0]
	v_pk_fma_f32 v[46:47], v[148:149], s[30:31], v[40:41]
	v_pk_mul_f32 v[244:245], v[244:245], s[70:71]
	v_mov_b32_e32 v45, v47
	v_pk_add_f32 v[24:25], v[44:45], v[24:25]
	v_pk_mul_f32 v[44:45], v[246:247], s[58:59]
	v_pk_fma_f32 v[238:239], v[52:53], s[34:35], v[244:245]
	v_pk_fma_f32 v[202:203], v[154:155], s[28:29], v[44:45] neg_lo:[1,0,0] neg_hi:[1,0,0]
	v_pk_fma_f32 v[90:91], v[154:155], s[28:29], v[44:45]
	v_accvgpr_write_b32 a172, v54
	v_mov_b32_e32 v203, v91
	v_pk_add_f32 v[202:203], v[156:157], v[202:203]
	v_accvgpr_write_b32 a124, v56
	v_pk_add_f32 v[108:109], v[108:109], v[202:203]
	v_pk_mul_f32 v[202:203], v[18:19], s[52:53]
	v_pk_mul_f32 v[18:19], v[18:19], s[58:59]
	v_pk_fma_f32 v[152:153], v[58:59], s[14:15], v[202:203] neg_lo:[1,0,0] neg_hi:[1,0,0]
	v_pk_fma_f32 v[130:131], v[58:59], s[14:15], v[202:203]
	v_pk_fma_f32 v[240:241], v[58:59], s[28:29], v[18:19]
	v_mov_b32_e32 v153, v131
	v_pk_add_f32 v[108:109], v[152:153], v[108:109]
	v_pk_mul_f32 v[152:153], v[242:243], s[68:69]
	v_pk_mul_f32 v[242:243], v[242:243], s[66:67]
	v_pk_fma_f32 v[124:125], v[64:65], s[42:43], v[152:153] neg_lo:[1,0,0] neg_hi:[1,0,0]
	v_pk_fma_f32 v[176:177], v[64:65], s[42:43], v[152:153]
	v_pk_fma_f32 v[54:55], v[64:65], s[38:39], v[242:243]
	v_mov_b32_e32 v125, v177
	v_pk_add_f32 v[108:109], v[124:125], v[108:109]
	v_pk_mul_f32 v[124:125], v[62:63], s[44:45]
	v_pk_mul_f32 v[62:63], v[62:63], s[46:47]
	v_pk_fma_f32 v[146:147], v[70:71], s[8:9], v[124:125] neg_lo:[1,0,0] neg_hi:[1,0,0]
	v_pk_fma_f32 v[230:231], v[70:71], s[8:9], v[124:125]
	v_accvgpr_write_b32 a205, v49
	v_mov_b32_e32 v147, v231
	v_pk_add_f32 v[108:109], v[146:147], v[108:109]
	v_pk_mul_f32 v[146:147], v[228:229], s[50:51]
	v_pk_fma_f32 v[6:7], v[154:155], s[22:23], v[6:7] neg_lo:[0,0,1] neg_hi:[0,0,1]
	v_pk_fma_f32 v[134:135], v[178:179], s[20:21], v[146:147] neg_lo:[1,0,0] neg_hi:[1,0,0]
	v_pk_fma_f32 v[16:17], v[178:179], s[20:21], v[146:147]
	v_mov_b32_e32 v161, v7
	v_mov_b32_e32 v135, v17
	v_pk_add_f32 v[108:109], v[134:135], v[108:109]
	v_pk_mul_f32 v[134:135], v[68:69], s[66:67]
	v_pk_mul_f32 v[68:69], v[68:69], s[48:49]
	v_pk_fma_f32 v[184:185], v[142:143], s[38:39], v[134:135] neg_lo:[1,0,0] neg_hi:[1,0,0]
	v_pk_fma_f32 v[190:191], v[142:143], s[38:39], v[134:135]
	v_pk_fma_f32 v[220:221], v[142:143], s[22:23], v[68:69]
	v_mov_b32_e32 v185, v191
	v_pk_add_f32 v[108:109], v[184:185], v[108:109]
	v_pk_mul_f32 v[184:185], v[192:193], s[48:49]
	v_pk_mul_f32 v[192:193], v[192:193], s[60:61]
	v_pk_fma_f32 v[226:227], v[148:149], s[22:23], v[184:185] neg_lo:[1,0,0] neg_hi:[1,0,0]
	v_pk_fma_f32 v[236:237], v[148:149], s[22:23], v[184:185]
	v_pk_fma_f32 v[248:249], v[148:149], s[40:41], v[192:193]
	v_mov_b32_e32 v227, v237
	v_pk_add_f32 v[108:109], v[226:227], v[108:109]
	ds_write2_b64 v211, v[24:25], v[108:109] offset0:6 offset1:7
	v_pk_mul_f32 v[24:25], v[246:247], s[50:51]
	v_pk_fma_f32 v[246:247], v[52:53], s[34:35], v[244:245] neg_lo:[1,0,0] neg_hi:[1,0,0]
	v_pk_fma_f32 v[108:109], v[154:155], s[20:21], v[24:25] neg_lo:[1,0,0] neg_hi:[1,0,0]
	v_pk_fma_f32 v[226:227], v[154:155], s[20:21], v[24:25]
	v_mov_b32_e32 v247, v239
	v_mov_b32_e32 v109, v227
	v_pk_add_f32 v[108:109], v[156:157], v[108:109]
	v_pk_fma_f32 v[24:25], v[154:155], s[20:21], v[24:25] neg_lo:[0,0,1] neg_hi:[0,0,1]
	v_pk_add_f32 v[108:109], v[246:247], v[108:109]
	v_pk_fma_f32 v[246:247], v[58:59], s[28:29], v[18:19] neg_lo:[1,0,0] neg_hi:[1,0,0]
	v_mov_b32_e32 v227, v25
	v_mov_b32_e32 v247, v241
	v_pk_add_f32 v[108:109], v[246:247], v[108:109]
	v_pk_fma_f32 v[246:247], v[64:65], s[38:39], v[242:243] neg_lo:[1,0,0] neg_hi:[1,0,0]
	v_pk_add_f32 v[24:25], v[156:157], v[226:227]
	v_mov_b32_e32 v247, v55
	v_pk_add_f32 v[56:57], v[246:247], v[108:109]
	v_pk_fma_f32 v[108:109], v[70:71], s[18:19], v[62:63] neg_lo:[1,0,0] neg_hi:[1,0,0]
	v_pk_fma_f32 v[246:247], v[70:71], s[18:19], v[62:63]
	v_pk_fma_f32 v[226:227], v[52:53], s[34:35], v[244:245] neg_lo:[0,0,1] neg_hi:[0,0,1]
	v_mov_b32_e32 v109, v247
	v_mov_b32_e32 v239, v227
	v_pk_fma_f32 v[18:19], v[58:59], s[28:29], v[18:19] neg_lo:[0,0,1] neg_hi:[0,0,1]
	v_pk_add_f32 v[56:57], v[108:109], v[56:57]
	v_pk_mul_f32 v[108:109], v[228:229], s[56:57]
	v_pk_add_f32 v[24:25], v[238:239], v[24:25]
	v_mov_b32_e32 v241, v19
	v_pk_fma_f32 v[228:229], v[178:179], s[30:31], v[108:109] neg_lo:[1,0,0] neg_hi:[1,0,0]
	v_pk_fma_f32 v[48:49], v[178:179], s[30:31], v[108:109]
	v_pk_add_f32 v[18:19], v[240:241], v[24:25]
	v_pk_fma_f32 v[24:25], v[64:65], s[38:39], v[242:243] neg_lo:[0,0,1] neg_hi:[0,0,1]
	v_mov_b32_e32 v229, v49
	v_mov_b32_e32 v55, v25
	v_pk_fma_f32 v[24:25], v[70:71], s[18:19], v[62:63] neg_lo:[0,0,1] neg_hi:[0,0,1]
	v_pk_add_f32 v[56:57], v[228:229], v[56:57]
	v_pk_fma_f32 v[228:229], v[142:143], s[22:23], v[68:69] neg_lo:[1,0,0] neg_hi:[1,0,0]
	v_pk_add_f32 v[18:19], v[54:55], v[18:19]
	v_mov_b32_e32 v247, v25
	v_pk_fma_f32 v[24:25], v[178:179], s[30:31], v[108:109] neg_lo:[0,0,1] neg_hi:[0,0,1]
	v_mov_b32_e32 v229, v221
	v_pk_add_f32 v[18:19], v[246:247], v[18:19]
	v_mov_b32_e32 v49, v25
	v_pk_fma_f32 v[24:25], v[142:143], s[22:23], v[68:69] neg_lo:[0,0,1] neg_hi:[0,0,1]
	v_pk_add_f32 v[56:57], v[228:229], v[56:57]
	v_pk_fma_f32 v[228:229], v[148:149], s[40:41], v[192:193] neg_lo:[1,0,0] neg_hi:[1,0,0]
	v_pk_add_f32 v[18:19], v[48:49], v[18:19]
	v_mov_b32_e32 v221, v25
	v_pk_fma_f32 v[24:25], v[148:149], s[40:41], v[192:193] neg_lo:[0,0,1] neg_hi:[0,0,1]
	v_mov_b32_e32 v229, v249
	v_pk_add_f32 v[18:19], v[220:221], v[18:19]
	v_mov_b32_e32 v249, v25
	v_pk_add_f32 v[56:57], v[228:229], v[56:57]
	v_pk_add_f32 v[18:19], v[248:249], v[18:19]
	ds_write2_b64 v211, v[56:57], v[18:19] offset0:8 offset1:9
	v_pk_fma_f32 v[18:19], v[154:155], s[28:29], v[44:45] neg_lo:[0,0,1] neg_hi:[0,0,1]
	v_pk_fma_f32 v[24:25], v[52:53], s[30:31], v[100:101] neg_lo:[0,0,1] neg_hi:[0,0,1]
	v_mov_b32_e32 v91, v19
	v_pk_add_f32 v[18:19], v[156:157], v[90:91]
	v_mov_b32_e32 v115, v25
	v_pk_fma_f32 v[24:25], v[58:59], s[14:15], v[202:203] neg_lo:[0,0,1] neg_hi:[0,0,1]
	v_pk_add_f32 v[18:19], v[114:115], v[18:19]
	v_mov_b32_e32 v131, v25
	v_pk_fma_f32 v[24:25], v[64:65], s[42:43], v[152:153] neg_lo:[0,0,1] neg_hi:[0,0,1]
	;; [unrolled: 3-line block ×4, first 2 shown]
	v_pk_add_f32 v[18:19], v[230:231], v[18:19]
	v_mov_b32_e32 v17, v25
	v_pk_add_f32 v[16:17], v[16:17], v[18:19]
	v_pk_fma_f32 v[18:19], v[142:143], s[38:39], v[134:135] neg_lo:[0,0,1] neg_hi:[0,0,1]
	v_pk_fma_f32 v[24:25], v[52:53], s[26:27], v[180:181] neg_lo:[0,0,1] neg_hi:[0,0,1]
	v_mov_b32_e32 v191, v19
	v_pk_fma_f32 v[18:19], v[148:149], s[22:23], v[184:185] neg_lo:[0,0,1] neg_hi:[0,0,1]
	v_mov_b32_e32 v213, v25
	v_mov_b32_e32 v237, v19
	v_pk_fma_f32 v[18:19], v[154:155], s[18:19], v[98:99] neg_lo:[0,0,1] neg_hi:[0,0,1]
	v_pk_fma_f32 v[24:25], v[58:59], s[8:9], v[196:197] neg_lo:[0,0,1] neg_hi:[0,0,1]
	v_mov_b32_e32 v195, v19
	v_pk_add_f32 v[18:19], v[156:157], v[194:195]
	v_mov_b32_e32 v27, v25
	v_pk_add_f32 v[18:19], v[212:213], v[18:19]
	v_pk_fma_f32 v[24:25], v[64:65], s[28:29], v[118:119] neg_lo:[0,0,1] neg_hi:[0,0,1]
	v_pk_add_f32 v[18:19], v[26:27], v[18:19]
	v_mov_b32_e32 v31, v25
	v_pk_fma_f32 v[24:25], v[70:71], s[40:41], v[28:29] neg_lo:[0,0,1] neg_hi:[0,0,1]
	v_pk_add_f32 v[18:19], v[30:31], v[18:19]
	v_mov_b32_e32 v35, v25
	;; [unrolled: 3-line block ×4, first 2 shown]
	v_pk_fma_f32 v[24:25], v[148:149], s[30:31], v[40:41] neg_lo:[0,0,1] neg_hi:[0,0,1]
	v_pk_add_f32 v[16:17], v[190:191], v[16:17]
	v_pk_add_f32 v[18:19], v[42:43], v[18:19]
	v_mov_b32_e32 v47, v25
	v_pk_add_f32 v[16:17], v[236:237], v[16:17]
	v_pk_add_f32 v[18:19], v[46:47], v[18:19]
	ds_write2_b64 v211, v[16:17], v[18:19] offset0:10 offset1:11
	v_pk_fma_f32 v[16:17], v[52:53], s[24:25], v[216:217] neg_lo:[0,0,1] neg_hi:[0,0,1]
	v_pk_add_f32 v[6:7], v[156:157], v[160:161]
	v_mov_b32_e32 v205, v17
	v_pk_fma_f32 v[16:17], v[58:59], s[38:39], v[208:209] neg_lo:[0,0,1] neg_hi:[0,0,1]
	v_pk_add_f32 v[6:7], v[204:205], v[6:7]
	v_mov_b32_e32 v207, v17
	;; [unrolled: 3-line block ×3, first 2 shown]
	v_pk_add_f32 v[4:5], v[138:139], v[6:7]
	v_pk_fma_f32 v[6:7], v[70:71], s[20:21], v[88:89] neg_lo:[0,0,1] neg_hi:[0,0,1]
	v_pk_fma_f32 v[16:17], v[52:53], s[20:21], v[76:77] neg_lo:[0,0,1] neg_hi:[0,0,1]
	v_mov_b32_e32 v255, v7
	v_pk_fma_f32 v[6:7], v[178:179], s[40:41], v[106:107] neg_lo:[0,0,1] neg_hi:[0,0,1]
	v_mov_b32_e32 v21, v17
	v_mov_b32_e32 v95, v7
	v_pk_fma_f32 v[6:7], v[142:143], s[8:9], v[188:189] neg_lo:[0,0,1] neg_hi:[0,0,1]
	v_pk_fma_f32 v[16:17], v[58:59], s[26:27], v[74:75] neg_lo:[0,0,1] neg_hi:[0,0,1]
	v_mov_b32_e32 v117, v7
	v_pk_fma_f32 v[6:7], v[148:149], s[18:19], v[200:201] neg_lo:[0,0,1] neg_hi:[0,0,1]
	v_mov_b32_e32 v23, v17
	v_mov_b32_e32 v127, v7
	v_pk_fma_f32 v[6:7], v[154:155], s[14:15], v[82:83] neg_lo:[0,0,1] neg_hi:[0,0,1]
	v_pk_fma_f32 v[16:17], v[64:65], s[34:35], v[84:85] neg_lo:[0,0,1] neg_hi:[0,0,1]
	v_mov_b32_e32 v81, v7
	v_pk_add_f32 v[6:7], v[156:157], v[80:81]
	v_mov_b32_e32 v79, v17
	v_pk_add_f32 v[6:7], v[20:21], v[6:7]
	v_pk_fma_f32 v[16:17], v[70:71], s[16:17], v[120:121] neg_lo:[0,0,1] neg_hi:[0,0,1]
	v_pk_add_f32 v[6:7], v[22:23], v[6:7]
	v_mov_b32_e32 v87, v17
	v_pk_add_f32 v[6:7], v[78:79], v[6:7]
	v_pk_fma_f32 v[16:17], v[178:179], s[28:29], v[50:51] neg_lo:[0,0,1] neg_hi:[0,0,1]
	v_pk_add_f32 v[4:5], v[254:255], v[4:5]
	v_pk_add_f32 v[6:7], v[86:87], v[6:7]
	v_mov_b32_e32 v123, v17
	v_pk_fma_f32 v[14:15], v[142:143], s[42:43], v[14:15] neg_lo:[0,0,1] neg_hi:[0,0,1]
	v_pk_add_f32 v[4:5], v[94:95], v[4:5]
	v_pk_add_f32 v[6:7], v[122:123], v[6:7]
	v_mov_b32_e32 v253, v15
	;; [unrolled: 4-line block ×3, first 2 shown]
	v_pk_add_f32 v[4:5], v[126:127], v[4:5]
	v_pk_add_f32 v[6:7], v[136:137], v[6:7]
	ds_write2_b64 v211, v[4:5], v[6:7] offset0:12 offset1:13
	v_pk_fma_f32 v[6:7], v[52:53], s[18:19], v[222:223] neg_lo:[0,0,1] neg_hi:[0,0,1]
	v_pk_fma_f32 v[4:5], v[154:155], s[16:17], v[232:233] neg_lo:[0,0,1] neg_hi:[0,0,1]
	v_mov_b32_e32 v219, v7
	v_pk_fma_f32 v[6:7], v[58:59], s[36:37], v[250:251] neg_lo:[0,0,1] neg_hi:[0,0,1]
	v_mov_b32_e32 v225, v5
	v_mov_b32_e32 v235, v7
	v_pk_fma_f32 v[6:7], v[64:65], s[26:27], v[168:169] neg_lo:[0,0,1] neg_hi:[0,0,1]
	v_pk_add_f32 v[4:5], v[156:157], v[224:225]
	v_mov_b32_e32 v183, v7
	v_pk_fma_f32 v[6:7], v[70:71], s[38:39], v[164:165] neg_lo:[0,0,1] neg_hi:[0,0,1]
	v_pk_add_f32 v[4:5], v[218:219], v[4:5]
	;; [unrolled: 3-line block ×5, first 2 shown]
	v_mov_b32_e32 v215, v7
	v_accvgpr_read_b32 v6, a250
	v_accvgpr_read_b32 v7, a251
	v_pk_fma_f32 v[6:7], v[154:155], s[10:11], v[6:7] neg_lo:[0,0,1] neg_hi:[0,0,1]
	v_pk_add_f32 v[4:5], v[112:113], v[4:5]
	v_mov_b32_e32 v11, v7
	v_pk_add_f32 v[6:7], v[156:157], v[10:11]
	v_accvgpr_read_b32 v10, a248
	v_accvgpr_read_b32 v11, a249
	v_pk_fma_f32 v[10:11], v[52:53], s[14:15], v[10:11] neg_lo:[0,0,1] neg_hi:[0,0,1]
	v_pk_add_f32 v[4:5], v[72:73], v[4:5]
	v_mov_b32_e32 v1, v11
	v_pk_add_f32 v[0:1], v[0:1], v[6:7]
	;; [unrolled: 6-line block ×3, first 2 shown]
	v_accvgpr_read_b32 v2, a252
	v_accvgpr_read_b32 v3, a253
	v_pk_fma_f32 v[2:3], v[64:65], s[20:21], v[2:3] neg_lo:[0,0,1] neg_hi:[0,0,1]
	v_accvgpr_read_b32 v30, a114
	v_mov_b32_e32 v9, v3
	v_accvgpr_read_b32 v2, a254
	v_accvgpr_read_b32 v3, a255
	v_pk_fma_f32 v[2:3], v[70:71], s[24:25], v[2:3] neg_lo:[0,0,1] neg_hi:[0,0,1]
	v_pk_add_f32 v[0:1], v[8:9], v[0:1]
	v_mov_b32_e32 v163, v3
	v_accvgpr_read_b32 v2, a4
	v_accvgpr_read_b32 v3, a5
	v_pk_fma_f32 v[2:3], v[178:179], s[26:27], v[2:3] neg_lo:[0,0,1] neg_hi:[0,0,1]
	v_pk_add_f32 v[0:1], v[162:163], v[0:1]
	v_mov_b32_e32 v167, v3
	v_pk_fma_f32 v[2:3], v[142:143], s[30:31], v[172:173] neg_lo:[0,0,1] neg_hi:[0,0,1]
	v_pk_add_f32 v[0:1], v[166:167], v[0:1]
	v_mov_b32_e32 v171, v3
	;; [unrolled: 3-line block ×3, first 2 shown]
	v_accvgpr_read_b32 v2, a230
	v_accvgpr_read_b32 v3, a231
	v_pk_fma_f32 v[2:3], v[52:53], s[10:11], v[2:3] neg_lo:[0,0,1] neg_hi:[0,0,1]
	v_pk_add_f32 v[0:1], v[174:175], v[0:1]
	v_mov_b32_e32 v13, v3
	v_accvgpr_read_b32 v2, a232
	v_accvgpr_read_b32 v3, a233
	v_pk_fma_f32 v[2:3], v[58:59], s[16:17], v[2:3] neg_lo:[0,0,1] neg_hi:[0,0,1]
	ds_write2_b64 v211, v[4:5], v[0:1] offset0:14 offset1:15
	v_mov_b32_e32 v61, v3
	v_accvgpr_read_b32 v2, a234
	v_accvgpr_read_b32 v3, a235
	v_pk_fma_f32 v[2:3], v[64:65], s[14:15], v[2:3] neg_lo:[0,0,1] neg_hi:[0,0,1]
	v_accvgpr_read_b32 v0, a244
	v_mov_b32_e32 v67, v3
	v_accvgpr_read_b32 v2, a236
	v_accvgpr_read_b32 v3, a237
	v_pk_fma_f32 v[2:3], v[70:71], s[22:23], v[2:3] neg_lo:[0,0,1] neg_hi:[0,0,1]
	v_accvgpr_read_b32 v1, a245
	v_mov_b32_e32 v111, v3
	v_accvgpr_read_b32 v2, a238
	v_pk_fma_f32 v[0:1], v[154:155], s[8:9], v[0:1] neg_lo:[0,0,1] neg_hi:[0,0,1]
	v_accvgpr_read_b32 v3, a239
	v_mov_b32_e32 v159, v1
	v_pk_fma_f32 v[2:3], v[178:179], s[18:19], v[2:3] neg_lo:[0,0,1] neg_hi:[0,0,1]
	v_pk_add_f32 v[0:1], v[156:157], v[158:159]
	v_mov_b32_e32 v141, v3
	v_accvgpr_read_b32 v2, a240
	v_pk_add_f32 v[0:1], v[12:13], v[0:1]
	v_accvgpr_read_b32 v3, a241
	v_pk_add_f32 v[0:1], v[60:61], v[0:1]
	v_pk_fma_f32 v[2:3], v[142:143], s[28:29], v[2:3] neg_lo:[0,0,1] neg_hi:[0,0,1]
	v_pk_add_f32 v[0:1], v[66:67], v[0:1]
	v_mov_b32_e32 v145, v3
	v_accvgpr_read_b32 v2, a242
	v_pk_add_f32 v[0:1], v[110:111], v[0:1]
	v_accvgpr_read_b32 v3, a243
	v_pk_add_f32 v[0:1], v[140:141], v[0:1]
	v_pk_fma_f32 v[2:3], v[148:149], s[20:21], v[2:3] neg_lo:[0,0,1] neg_hi:[0,0,1]
	v_pk_add_f32 v[0:1], v[144:145], v[0:1]
	v_mov_b32_e32 v151, v3
	v_pk_add_f32 v[0:1], v[150:151], v[0:1]
	ds_write_b64 v211, v[0:1] offset:128
	v_mul_u32_u24_e32 v0, 17, v30
	v_accvgpr_read_b32 v29, a29
	v_accvgpr_write_b32 a114, v0
	s_and_saveexec_b64 s[34:35], vcc
	s_cbranch_execz .LBB0_7
; %bb.6:
	v_accvgpr_read_b32 v26, a120
	v_pk_mul_f32 v[24:25], v[102:103], s[20:21]
	v_accvgpr_read_b32 v27, a121
	v_pk_add_f32 v[24:25], v[26:27], v[24:25] neg_lo:[0,1] neg_hi:[0,1]
	v_accvgpr_read_b32 v26, a112
	v_pk_mul_f32 v[20:21], v[92:93], s[16:17]
	v_accvgpr_read_b32 v27, a113
	v_accvgpr_read_b32 v2, a136
	v_pk_add_f32 v[20:21], v[26:27], v[20:21] neg_lo:[0,1] neg_hi:[0,1]
	v_accvgpr_read_b32 v26, a116
	v_pk_mul_f32 v[0:1], v[92:93], s[28:29]
	v_accvgpr_read_b32 v3, a137
	v_accvgpr_read_b32 v4, a138
	v_pk_mul_f32 v[22:23], v[102:103], s[18:19]
	v_accvgpr_read_b32 v27, a117
	v_pk_add_f32 v[0:1], v[2:3], v[0:1] neg_lo:[0,1] neg_hi:[0,1]
	v_pk_mul_f32 v[2:3], v[102:103], s[30:31]
	v_accvgpr_read_b32 v5, a139
	v_accvgpr_read_b32 v6, a130
	v_pk_add_f32 v[22:23], v[26:27], v[22:23] neg_lo:[0,1] neg_hi:[0,1]
	v_accvgpr_read_b32 v26, a108
	v_pk_add_f32 v[2:3], v[4:5], v[2:3] neg_lo:[0,1] neg_hi:[0,1]
	v_pk_mul_f32 v[4:5], v[92:93], s[18:19]
	v_accvgpr_read_b32 v7, a131
	v_accvgpr_read_b32 v8, a132
	v_pk_mul_f32 v[14:15], v[92:93], s[10:11]
	v_accvgpr_read_b32 v18, a118
	v_accvgpr_read_b32 v27, a109
	v_pk_add_f32 v[4:5], v[6:7], v[4:5] neg_lo:[0,1] neg_hi:[0,1]
	v_pk_mul_f32 v[6:7], v[102:103], s[26:27]
	v_accvgpr_read_b32 v9, a133
	v_accvgpr_read_b32 v10, a126
	v_pk_mul_f32 v[16:17], v[92:93], s[14:15]
	v_accvgpr_read_b32 v19, a119
	v_pk_add_f32 v[14:15], v[26:27], v[14:15] neg_lo:[0,1] neg_hi:[0,1]
	v_accvgpr_read_b32 v26, a110
	v_pk_add_f32 v[6:7], v[8:9], v[6:7] neg_lo:[0,1] neg_hi:[0,1]
	v_pk_mul_f32 v[8:9], v[92:93], s[22:23]
	v_accvgpr_read_b32 v11, a127
	v_accvgpr_read_b32 v12, a128
	v_pk_add_f32 v[16:17], v[18:19], v[16:17] neg_lo:[0,1] neg_hi:[0,1]
	v_pk_mul_f32 v[18:19], v[102:103], s[14:15]
	v_accvgpr_read_b32 v27, a111
	v_pk_add_f32 v[8:9], v[10:11], v[8:9] neg_lo:[0,1] neg_hi:[0,1]
	v_pk_mul_f32 v[10:11], v[102:103], s[24:25]
	v_accvgpr_read_b32 v13, a129
	v_pk_add_f32 v[18:19], v[26:27], v[18:19] neg_lo:[0,1] neg_hi:[0,1]
	v_accvgpr_read_b32 v26, a106
	v_accvgpr_read_b32 v32, a58
	v_pk_add_f32 v[10:11], v[12:13], v[10:11] neg_lo:[0,1] neg_hi:[0,1]
	v_pk_mul_f32 v[12:13], v[92:93], s[8:9]
	v_accvgpr_read_b32 v27, a107
	v_accvgpr_read_b32 v33, a59
	;; [unrolled: 1-line block ×4, first 2 shown]
	v_pk_add_f32 v[12:13], v[26:27], v[12:13] neg_lo:[0,1] neg_hi:[0,1]
	v_pk_add_f32 v[26:27], v[34:35], v[32:33]
	v_accvgpr_read_b32 v34, a82
	v_accvgpr_read_b32 v35, a83
	;; [unrolled: 1-line block ×4, first 2 shown]
	v_pk_add_f32 v[26:27], v[34:35], v[26:27]
	v_accvgpr_read_b32 v13, a93
	v_pk_add_f32 v[26:27], v[36:37], v[26:27]
	v_accvgpr_read_b32 v34, a74
	v_accvgpr_read_b32 v35, a75
	v_accvgpr_read_b32 v36, a76
	v_accvgpr_read_b32 v37, a77
	v_pk_add_f32 v[26:27], v[34:35], v[26:27]
	v_pk_add_f32 v[12:13], v[12:13], v[32:33]
	;; [unrolled: 1-line block ×3, first 2 shown]
	v_accvgpr_read_b32 v34, a66
	v_accvgpr_read_b32 v35, a67
	;; [unrolled: 1-line block ×4, first 2 shown]
	v_pk_add_f32 v[26:27], v[34:35], v[26:27]
	v_accvgpr_read_b32 v28, a114
	v_pk_add_f32 v[26:27], v[36:37], v[26:27]
	v_accvgpr_read_b32 v34, a62
	v_accvgpr_read_b32 v35, a63
	;; [unrolled: 1-line block ×4, first 2 shown]
	v_pk_add_f32 v[26:27], v[34:35], v[26:27]
	v_accvgpr_read_b32 v15, a95
	v_pk_add_f32 v[26:27], v[36:37], v[26:27]
	v_accvgpr_read_b32 v34, a70
	v_accvgpr_read_b32 v35, a71
	;; [unrolled: 1-line block ×4, first 2 shown]
	v_pk_add_f32 v[26:27], v[34:35], v[26:27]
	v_lshl_add_u32 v28, v28, 3, v29
	v_pk_add_f32 v[26:27], v[36:37], v[26:27]
	v_accvgpr_read_b32 v34, a78
	v_accvgpr_read_b32 v35, a79
	;; [unrolled: 1-line block ×4, first 2 shown]
	v_pk_add_f32 v[26:27], v[34:35], v[26:27]
	v_accvgpr_read_b32 v19, a97
	v_pk_add_f32 v[26:27], v[36:37], v[26:27]
	v_accvgpr_read_b32 v34, a88
	v_accvgpr_read_b32 v35, a89
	v_accvgpr_read_b32 v36, a90
	v_accvgpr_read_b32 v37, a91
	v_pk_add_f32 v[26:27], v[34:35], v[26:27]
	v_accvgpr_read_b32 v34, a86
	v_pk_add_f32 v[26:27], v[36:37], v[26:27]
	v_accvgpr_read_b32 v35, a87
	;; [unrolled: 2-line block ×3, first 2 shown]
	v_accvgpr_read_b32 v35, a141
	v_pk_add_f32 v[12:13], v[34:35], v[12:13]
	v_accvgpr_read_b32 v34, a142
	v_accvgpr_read_b32 v35, a147
	v_pk_add_f32 v[12:13], v[34:35], v[12:13]
	v_accvgpr_read_b32 v34, a150
	;; [unrolled: 3-line block ×6, first 2 shown]
	v_accvgpr_read_b32 v35, a217
	v_pk_add_f32 v[12:13], v[34:35], v[12:13]
	ds_write2_b64 v28, v[26:27], v[12:13] offset1:1
	v_pk_add_f32 v[12:13], v[14:15], v[32:33]
	v_accvgpr_read_b32 v14, a144
	v_pk_add_f32 v[12:13], v[18:19], v[12:13]
	v_accvgpr_read_b32 v15, a151
	;; [unrolled: 2-line block ×3, first 2 shown]
	v_accvgpr_read_b32 v15, a161
	v_pk_add_f32 v[12:13], v[14:15], v[12:13]
	v_accvgpr_read_b32 v14, a168
	v_accvgpr_read_b32 v15, a175
	v_pk_add_f32 v[12:13], v[14:15], v[12:13]
	v_accvgpr_read_b32 v14, a178
	;; [unrolled: 3-line block ×3, first 2 shown]
	v_accvgpr_read_b32 v15, a215
	v_accvgpr_read_b32 v1, a195
	;; [unrolled: 1-line block ×4, first 2 shown]
	v_pk_add_f32 v[12:13], v[14:15], v[12:13]
	v_accvgpr_read_b32 v14, a196
	v_accvgpr_read_b32 v15, a221
	;; [unrolled: 1-line block ×5, first 2 shown]
	v_pk_add_f32 v[12:13], v[14:15], v[12:13]
	v_pk_add_f32 v[14:15], v[20:21], v[32:33]
	;; [unrolled: 1-line block ×4, first 2 shown]
	v_accvgpr_read_b32 v62, a158
	v_accvgpr_read_b32 v63, a197
	;; [unrolled: 1-line block ×6, first 2 shown]
	v_pk_add_f32 v[14:15], v[22:23], v[14:15]
	v_pk_add_f32 v[4:5], v[6:7], v[4:5]
	;; [unrolled: 1-line block ×3, first 2 shown]
	v_accvgpr_read_b32 v64, a160
	v_accvgpr_read_b32 v65, a201
	v_accvgpr_read_b32 v60, a148
	v_accvgpr_read_b32 v61, a183
	v_pk_add_f32 v[14:15], v[50:51], v[14:15]
	v_accvgpr_read_b32 v18, a152
	v_accvgpr_read_b32 v19, a159
	v_pk_add_f32 v[4:5], v[58:59], v[4:5]
	v_pk_add_f32 v[0:1], v[62:63], v[0:1]
	v_accvgpr_read_b32 v66, a162
	v_accvgpr_read_b32 v67, a203
	v_accvgpr_read_b32 v46, a100
	v_accvgpr_read_b32 v47, a125
	v_pk_add_f32 v[14:15], v[18:19], v[14:15]
	v_accvgpr_read_b32 v18, a166
	v_accvgpr_read_b32 v19, a173
	v_pk_add_f32 v[4:5], v[60:61], v[4:5]
	v_pk_add_f32 v[0:1], v[64:65], v[0:1]
	;; [unrolled: 9-line block ×3, first 2 shown]
	v_accvgpr_read_b32 v54, a124
	v_accvgpr_read_b32 v55, a149
	v_pk_add_f32 v[14:15], v[18:19], v[14:15]
	v_accvgpr_read_b32 v18, a188
	v_accvgpr_read_b32 v19, a213
	v_pk_add_f32 v[4:5], v[48:49], v[4:5]
	v_accvgpr_read_b32 v6, a180
	v_accvgpr_read_b32 v7, a205
	v_pk_add_f32 v[0:1], v[52:53], v[0:1]
	v_pk_add_f32 v[14:15], v[18:19], v[14:15]
	v_accvgpr_read_b32 v18, a194
	v_accvgpr_read_b32 v19, a219
	v_pk_add_f32 v[4:5], v[6:7], v[4:5]
	v_accvgpr_read_b32 v6, a204
	v_accvgpr_read_b32 v7, a229
	;; [unrolled: 3-line block ×3, first 2 shown]
	v_accvgpr_read_b32 v9, a165
	v_accvgpr_read_b32 v17, a155
	v_pk_add_f32 v[14:15], v[18:19], v[14:15]
	v_pk_add_f32 v[4:5], v[6:7], v[4:5]
	;; [unrolled: 1-line block ×3, first 2 shown]
	v_accvgpr_read_b32 v11, a163
	v_accvgpr_read_b32 v25, a153
	ds_write2_b64 v28, v[12:13], v[14:15] offset0:2 offset1:3
	v_pk_add_f32 v[12:13], v[16:17], v[32:33]
	v_pk_add_f32 v[8:9], v[8:9], v[32:33]
	ds_write2_b64 v28, v[4:5], v[0:1] offset0:6 offset1:7
	v_accvgpr_read_b32 v0, a54
	v_accvgpr_read_b32 v56, a134
	;; [unrolled: 1-line block ×5, first 2 shown]
	v_pk_add_f32 v[12:13], v[24:25], v[12:13]
	v_pk_add_f32 v[8:9], v[10:11], v[8:9]
	v_accvgpr_read_b32 v1, a55
	v_accvgpr_read_b32 v2, a56
	;; [unrolled: 1-line block ×7, first 2 shown]
	v_pk_add_f32 v[12:13], v[38:39], v[12:13]
	v_pk_add_f32 v[8:9], v[56:57], v[8:9]
	ds_write2_b64 v28, v[0:1], v[2:3] offset0:8 offset1:9
	v_accvgpr_read_b32 v0, a50
	v_accvgpr_read_b32 v44, a98
	;; [unrolled: 1-line block ×3, first 2 shown]
	v_pk_add_f32 v[12:13], v[42:43], v[12:13]
	v_accvgpr_read_b32 v14, a164
	v_accvgpr_read_b32 v15, a171
	v_pk_add_f32 v[8:9], v[40:41], v[8:9]
	v_accvgpr_read_b32 v1, a51
	v_accvgpr_read_b32 v2, a52
	;; [unrolled: 1-line block ×3, first 2 shown]
	v_pk_add_f32 v[12:13], v[14:15], v[12:13]
	v_accvgpr_read_b32 v14, a174
	v_accvgpr_read_b32 v15, a189
	v_pk_add_f32 v[8:9], v[44:45], v[8:9]
	v_accvgpr_read_b32 v10, a172
	v_accvgpr_read_b32 v11, a187
	ds_write2_b64 v28, v[0:1], v[2:3] offset0:10 offset1:11
	v_accvgpr_read_b32 v0, a46
	v_pk_add_f32 v[12:13], v[14:15], v[12:13]
	v_accvgpr_read_b32 v14, a186
	v_accvgpr_read_b32 v15, a211
	v_pk_add_f32 v[8:9], v[10:11], v[8:9]
	v_accvgpr_read_b32 v10, a182
	v_accvgpr_read_b32 v11, a207
	v_accvgpr_read_b32 v1, a47
	v_accvgpr_read_b32 v2, a48
	v_accvgpr_read_b32 v3, a49
	v_pk_add_f32 v[12:13], v[14:15], v[12:13]
	v_accvgpr_read_b32 v14, a200
	v_accvgpr_read_b32 v15, a225
	v_pk_add_f32 v[8:9], v[10:11], v[8:9]
	v_accvgpr_read_b32 v10, a198
	v_accvgpr_read_b32 v11, a223
	ds_write2_b64 v28, v[0:1], v[2:3] offset0:12 offset1:13
	v_accvgpr_read_b32 v0, a42
	v_pk_add_f32 v[12:13], v[14:15], v[12:13]
	v_pk_add_f32 v[8:9], v[10:11], v[8:9]
	v_accvgpr_read_b32 v1, a43
	v_accvgpr_read_b32 v2, a44
	;; [unrolled: 1-line block ×3, first 2 shown]
	ds_write2_b64 v28, v[12:13], v[8:9] offset0:4 offset1:5
	ds_write2_b64 v28, v[0:1], v[2:3] offset0:14 offset1:15
	ds_write_b64 v28, a[40:41] offset:128
.LBB0_7:
	s_or_b64 exec, exec, s[34:35]
	v_accvgpr_read_b32 v25, a1
	v_accvgpr_read_b32 v24, a0
	v_lshlrev_b32_e32 v8, 5, v24
	s_waitcnt lgkmcnt(0)
	; wave barrier
	s_waitcnt lgkmcnt(0)
	global_load_dwordx4 v[20:23], v8, s[0:1]
	global_load_dwordx4 v[16:19], v8, s[0:1] offset:16
	s_mov_b64 s[16:17], 0x44
	v_lshl_add_u64 v[2:3], v[24:25], 0, 51
	s_movk_i32 s9, 0xf1
	v_lshl_add_u64 v[4:5], v[24:25], 0, s[16:17]
	v_mul_lo_u16_sdwa v3, v4, s9 dst_sel:DWORD dst_unused:UNUSED_PAD src0_sel:BYTE_0 src1_sel:DWORD
	v_lshrrev_b16_e32 v3, 12, v3
	v_mul_lo_u16_e32 v3, 17, v3
	v_sub_u16_e32 v3, v4, v3
	v_lshlrev_b16_e32 v5, 2, v3
	v_and_b32_e32 v5, 0xfc, v5
	v_lshlrev_b32_e32 v5, 3, v5
	ds_read2_b64 v[52:55], v210 offset1:17
	ds_read2_b64 v[48:51], v210 offset0:68 offset1:85
	ds_read2_b64 v[56:59], v210 offset0:170 offset1:187
	;; [unrolled: 1-line block ×3, first 2 shown]
	global_load_dwordx4 v[44:47], v5, s[0:1] offset:16
	global_load_dwordx4 v[88:91], v5, s[0:1]
	v_lshl_add_u64 v[0:1], v[24:25], 0, 34
	v_mul_lo_u16_sdwa v1, v0, s9 dst_sel:DWORD dst_unused:UNUSED_PAD src0_sel:BYTE_0 src1_sel:DWORD
	v_mul_lo_u16_sdwa v5, v2, s9 dst_sel:DWORD dst_unused:UNUSED_PAD src0_sel:BYTE_0 src1_sel:DWORD
	v_lshrrev_b16_e32 v1, 12, v1
	v_lshrrev_b16_e32 v5, 12, v5
	v_mul_lo_u16_e32 v1, 17, v1
	v_mul_lo_u16_e32 v5, 17, v5
	v_sub_u16_e32 v1, v0, v1
	v_sub_u16_e32 v5, v2, v5
	v_lshlrev_b16_e32 v6, 2, v1
	v_lshlrev_b16_e32 v7, 2, v5
	v_and_b32_e32 v6, 0xfc, v6
	v_add_u32_e32 v14, 0x800, v210
	v_and_b32_e32 v7, 0xfc, v7
	v_lshlrev_b32_e32 v6, 3, v6
	ds_read2_b64 v[60:63], v14 offset0:84 offset1:101
	v_lshlrev_b32_e32 v7, 3, v7
	global_load_dwordx4 v[32:35], v6, s[0:1] offset:16
	global_load_dwordx4 v[36:39], v6, s[0:1]
	global_load_dwordx4 v[40:43], v7, s[0:1] offset:16
	global_load_dwordx4 v[156:159], v7, s[0:1]
	s_mov_b32 s10, 0x3f737871
	s_mov_b32 s14, 0x3f167918
	;; [unrolled: 1-line block ×3, first 2 shown]
	v_and_b32_e32 v1, 0xff, v1
	v_lshl_add_u32 v9, v1, 3, v29
	v_and_b32_e32 v1, 0xff, v5
	v_lshl_add_u32 v5, v1, 3, v29
	;; [unrolled: 2-line block ×3, first 2 shown]
	v_add_u32_e32 v1, 0x400, v5
	v_lshlrev_b32_e32 v0, 5, v0
	v_accvgpr_write_b32 a58, v3
	v_accvgpr_write_b32 a59, v5
	;; [unrolled: 1-line block ×3, first 2 shown]
	v_lshl_add_u32 v15, v24, 3, v29
	v_accvgpr_write_b32 a1, v15
	s_waitcnt vmcnt(7) lgkmcnt(3)
	v_pk_mul_f32 v[6:7], v[50:51], v[20:21] op_sel:[0,1]
	v_mov_b32_e32 v76, v23
	s_waitcnt vmcnt(6) lgkmcnt(1)
	v_pk_mul_f32 v[64:65], v[12:13], v[16:17] op_sel:[0,1]
	v_mov_b32_e32 v78, v19
	v_pk_fma_f32 v[66:67], v[50:51], v[20:21], v[6:7] op_sel:[0,0,1] op_sel_hi:[1,1,0] neg_lo:[0,0,1] neg_hi:[0,0,1]
	v_pk_fma_f32 v[6:7], v[50:51], v[20:21], v[6:7] op_sel:[0,0,1] op_sel_hi:[1,0,0]
	v_pk_mul_f32 v[50:51], v[56:57], v[76:77] op_sel_hi:[1,0]
	v_pk_fma_f32 v[68:69], v[12:13], v[16:17], v[64:65] op_sel:[0,0,1] op_sel_hi:[1,1,0] neg_lo:[0,0,1] neg_hi:[0,0,1]
	v_pk_fma_f32 v[12:13], v[12:13], v[16:17], v[64:65] op_sel:[0,0,1] op_sel_hi:[1,0,0]
	s_waitcnt lgkmcnt(0)
	v_pk_mul_f32 v[64:65], v[60:61], v[78:79] op_sel_hi:[1,0]
	v_mov_b32_e32 v67, v7
	v_pk_fma_f32 v[6:7], v[56:57], v[22:23], v[50:51] op_sel:[0,0,1] op_sel_hi:[1,1,0] neg_lo:[0,0,1] neg_hi:[0,0,1]
	v_pk_fma_f32 v[50:51], v[56:57], v[22:23], v[50:51] op_sel:[0,0,1] op_sel_hi:[1,0,0]
	v_mov_b32_e32 v69, v13
	v_pk_fma_f32 v[12:13], v[60:61], v[18:19], v[64:65] op_sel:[0,0,1] op_sel_hi:[1,1,0] neg_lo:[0,0,1] neg_hi:[0,0,1]
	v_pk_fma_f32 v[56:57], v[60:61], v[18:19], v[64:65] op_sel:[0,0,1] op_sel_hi:[1,0,0]
	v_mov_b32_e32 v7, v51
	v_mov_b32_e32 v13, v57
	v_pk_add_f32 v[50:51], v[52:53], v[66:67]
	v_pk_add_f32 v[56:57], v[6:7], v[68:69]
	;; [unrolled: 1-line block ×4, first 2 shown]
	v_pk_add_f32 v[60:61], v[66:67], v[12:13] neg_lo:[0,1] neg_hi:[0,1]
	v_pk_add_f32 v[64:65], v[6:7], v[68:69] neg_lo:[0,1] neg_hi:[0,1]
	;; [unrolled: 1-line block ×5, first 2 shown]
	v_pk_fma_f32 v[56:57], v[56:57], 0.5, v[52:53] op_sel_hi:[1,0,1] neg_lo:[1,0,0] neg_hi:[1,0,0]
	v_pk_add_f32 v[50:51], v[50:51], v[68:69]
	v_pk_fma_f32 v[52:53], v[74:75], 0.5, v[52:53] op_sel_hi:[1,0,1] neg_lo:[1,0,0] neg_hi:[1,0,0]
	v_pk_add_f32 v[72:73], v[12:13], v[68:69] neg_lo:[0,1] neg_hi:[0,1]
	v_pk_add_f32 v[6:7], v[6:7], v[66:67]
	v_pk_fma_f32 v[66:67], v[60:61], s[10:11], v[56:57] op_sel:[1,0,0] op_sel_hi:[0,0,1]
	v_pk_fma_f32 v[56:57], v[60:61], s[10:11], v[56:57] op_sel:[1,0,0] op_sel_hi:[0,0,1] neg_lo:[1,0,0] neg_hi:[1,0,0]
	v_pk_add_f32 v[80:81], v[50:51], v[12:13]
	v_pk_fma_f32 v[12:13], v[64:65], s[10:11], v[52:53] op_sel:[1,0,0] op_sel_hi:[0,0,1] neg_lo:[1,0,0] neg_hi:[1,0,0]
	v_pk_fma_f32 v[50:51], v[64:65], s[10:11], v[52:53] op_sel:[1,0,0] op_sel_hi:[0,0,1]
	v_pk_fma_f32 v[52:53], v[64:65], s[14:15], v[56:57] op_sel:[1,0,0] op_sel_hi:[0,0,1] neg_lo:[1,0,0] neg_hi:[1,0,0]
	v_pk_fma_f32 v[56:57], v[64:65], s[14:15], v[66:67] op_sel:[1,0,0] op_sel_hi:[0,0,1]
	;; [unrolled: 2-line block ×3, first 2 shown]
	v_pk_add_f32 v[70:71], v[70:71], v[72:73]
	v_mov_b32_e32 v65, v53
	v_mov_b32_e32 v61, v51
	;; [unrolled: 1-line block ×5, first 2 shown]
	v_pk_fma_f32 v[84:85], v[6:7], s[8:9], v[50:51] op_sel_hi:[1,0,1]
	v_pk_fma_f32 v[56:57], v[70:71], s[8:9], v[52:53] op_sel_hi:[1,0,1]
	ds_read2_b64 v[50:53], v210 offset0:136 offset1:153
	v_mov_b32_e32 v60, v12
	v_pk_fma_f32 v[82:83], v[70:71], s[8:9], v[64:65] op_sel_hi:[1,0,1]
	v_pk_fma_f32 v[60:61], v[6:7], s[8:9], v[60:61] op_sel_hi:[1,0,1]
	ds_read2_b64 v[64:67], v14 offset0:50 offset1:67
	ds_read_b64 v[12:13], v210 offset:3264
	s_waitcnt vmcnt(4) lgkmcnt(2)
	v_pk_mul_f32 v[68:69], v[52:53], v[88:89] op_sel:[0,1]
	v_accvgpr_write_b32 a82, v88
	v_pk_fma_f32 v[6:7], v[52:53], v[88:89], v[68:69] op_sel:[0,0,1] op_sel_hi:[1,1,0] neg_lo:[0,0,1] neg_hi:[0,0,1]
	v_pk_fma_f32 v[52:53], v[52:53], v[88:89], v[68:69] op_sel:[0,0,1] op_sel_hi:[1,0,0]
	v_accvgpr_write_b32 a83, v89
	v_mov_b32_e32 v52, v91
	v_mov_b32_e32 v7, v53
	v_pk_mul_f32 v[52:53], v[10:11], v[52:53] op_sel_hi:[1,0]
	v_accvgpr_write_b32 a84, v90
	v_pk_fma_f32 v[86:87], v[10:11], v[90:91], v[52:53] op_sel:[0,0,1] op_sel_hi:[1,1,0] neg_lo:[0,0,1] neg_hi:[0,0,1]
	v_pk_fma_f32 v[10:11], v[10:11], v[90:91], v[52:53] op_sel:[0,0,1] op_sel_hi:[1,0,0]
	v_accvgpr_write_b32 a85, v91
	v_mov_b32_e32 v87, v11
	s_waitcnt lgkmcnt(1)
	v_pk_mul_f32 v[10:11], v[66:67], v[44:45] op_sel:[0,1]
	s_waitcnt vmcnt(0)
	v_pk_mul_f32 v[52:53], v[50:51], v[156:157] op_sel:[0,1]
	v_pk_fma_f32 v[88:89], v[66:67], v[44:45], v[10:11] op_sel:[0,0,1] op_sel_hi:[1,1,0] neg_lo:[0,0,1] neg_hi:[0,0,1]
	v_pk_fma_f32 v[10:11], v[66:67], v[44:45], v[10:11] op_sel:[0,0,1] op_sel_hi:[1,0,0]
	v_pk_fma_f32 v[94:95], v[50:51], v[156:157], v[52:53] op_sel:[0,0,1] op_sel_hi:[1,1,0] neg_lo:[0,0,1] neg_hi:[0,0,1]
	v_mov_b32_e32 v10, v47
	v_mov_b32_e32 v89, v11
	s_waitcnt lgkmcnt(0)
	v_pk_mul_f32 v[10:11], v[12:13], v[10:11] op_sel_hi:[1,0]
	v_pk_fma_f32 v[50:51], v[50:51], v[156:157], v[52:53] op_sel:[0,0,1] op_sel_hi:[1,0,0]
	v_pk_fma_f32 v[90:91], v[12:13], v[46:47], v[10:11] op_sel:[0,0,1] op_sel_hi:[1,1,0] neg_lo:[0,0,1] neg_hi:[0,0,1]
	v_pk_fma_f32 v[10:11], v[12:13], v[46:47], v[10:11] op_sel:[0,0,1] op_sel_hi:[1,0,0]
	v_mov_b32_e32 v50, v159
	v_mov_b32_e32 v91, v11
	v_pk_add_f32 v[10:11], v[48:49], v[6:7]
	v_mov_b32_e32 v95, v51
	v_pk_add_f32 v[10:11], v[10:11], v[86:87]
	v_accvgpr_write_b32 a73, v43
	v_pk_add_f32 v[10:11], v[10:11], v[88:89]
	v_accvgpr_write_b32 a72, v42
	v_pk_add_f32 v[92:93], v[10:11], v[90:91]
	ds_read2_b64 v[10:13], v210 offset0:34 offset1:51
	ds_read2_b64 v[66:69], v210 offset0:204 offset1:221
	;; [unrolled: 1-line block ×3, first 2 shown]
	v_accvgpr_write_b32 a71, v41
	v_accvgpr_write_b32 a70, v40
	;; [unrolled: 1-line block ×3, first 2 shown]
	s_waitcnt lgkmcnt(1)
	v_pk_mul_f32 v[50:51], v[68:69], v[50:51] op_sel_hi:[1,0]
	v_accvgpr_write_b32 a65, v35
	v_pk_fma_f32 v[96:97], v[68:69], v[158:159], v[50:51] op_sel:[0,0,1] op_sel_hi:[1,1,0] neg_lo:[0,0,1] neg_hi:[0,0,1]
	v_pk_fma_f32 v[50:51], v[68:69], v[158:159], v[50:51] op_sel:[0,0,1] op_sel_hi:[1,0,0]
	v_accvgpr_write_b32 a68, v38
	v_mov_b32_e32 v97, v51
	v_pk_mul_f32 v[50:51], v[64:65], v[40:41] op_sel:[0,1]
	v_accvgpr_write_b32 a67, v37
	v_pk_fma_f32 v[68:69], v[64:65], v[40:41], v[50:51] op_sel:[0,0,1] op_sel_hi:[1,1,0] neg_lo:[0,0,1] neg_hi:[0,0,1]
	v_pk_fma_f32 v[50:51], v[64:65], v[40:41], v[50:51] op_sel:[0,0,1] op_sel_hi:[1,0,0]
	v_accvgpr_write_b32 a66, v36
	v_mov_b32_e32 v50, v43
	v_mov_b32_e32 v69, v51
	s_waitcnt lgkmcnt(0)
	v_pk_mul_f32 v[50:51], v[72:73], v[50:51] op_sel_hi:[1,0]
	v_accvgpr_write_b32 a64, v34
	v_pk_fma_f32 v[64:65], v[72:73], v[42:43], v[50:51] op_sel:[0,0,1] op_sel_hi:[1,1,0] neg_lo:[0,0,1] neg_hi:[0,0,1]
	v_pk_fma_f32 v[50:51], v[72:73], v[42:43], v[50:51] op_sel:[0,0,1] op_sel_hi:[1,0,0]
	v_pk_add_f32 v[72:73], v[12:13], v[94:95]
	v_mov_b32_e32 v65, v51
	ds_read2_b64 v[50:53], v210 offset0:102 offset1:119
	v_pk_add_f32 v[72:73], v[72:73], v[96:97]
	v_accvgpr_write_b32 a63, v33
	v_pk_add_f32 v[72:73], v[72:73], v[68:69]
	v_accvgpr_write_b32 a62, v32
	v_pk_add_f32 v[98:99], v[72:73], v[64:65]
	ds_read2_b64 v[72:75], v14 offset0:16 offset1:33
	s_waitcnt lgkmcnt(1)
	v_pk_mul_f32 v[112:113], v[50:51], v[20:21] op_sel:[0,1]
	v_pk_mul_f32 v[100:101], v[52:53], v[36:37] op_sel:[0,1]
	v_pk_fma_f32 v[114:115], v[50:51], v[20:21], v[112:113] op_sel:[0,0,1] op_sel_hi:[1,1,0] neg_lo:[0,0,1] neg_hi:[0,0,1]
	v_pk_fma_f32 v[50:51], v[50:51], v[20:21], v[112:113] op_sel:[0,0,1] op_sel_hi:[1,0,0]
	v_pk_fma_f32 v[102:103], v[52:53], v[36:37], v[100:101] op_sel:[0,0,1] op_sel_hi:[1,1,0] neg_lo:[0,0,1] neg_hi:[0,0,1]
	v_mov_b32_e32 v115, v51
	v_pk_mul_f32 v[50:51], v[58:59], v[76:77] op_sel_hi:[1,0]
	v_pk_fma_f32 v[52:53], v[52:53], v[36:37], v[100:101] op_sel:[0,0,1] op_sel_hi:[1,0,0]
	v_pk_fma_f32 v[76:77], v[58:59], v[22:23], v[50:51] op_sel:[0,0,1] op_sel_hi:[1,1,0] neg_lo:[0,0,1] neg_hi:[0,0,1]
	v_pk_fma_f32 v[50:51], v[58:59], v[22:23], v[50:51] op_sel:[0,0,1] op_sel_hi:[1,0,0]
	v_mov_b32_e32 v52, v39
	v_mov_b32_e32 v77, v51
	s_waitcnt lgkmcnt(0)
	v_pk_mul_f32 v[50:51], v[72:73], v[16:17] op_sel:[0,1]
	s_nop 0
	v_pk_fma_f32 v[58:59], v[72:73], v[16:17], v[50:51] op_sel:[0,0,1] op_sel_hi:[1,1,0] neg_lo:[0,0,1] neg_hi:[0,0,1]
	v_pk_fma_f32 v[50:51], v[72:73], v[16:17], v[50:51] op_sel:[0,0,1] op_sel_hi:[1,0,0]
	; wave barrier
	s_nop 0
	v_mov_b32_e32 v59, v51
	v_pk_mul_f32 v[50:51], v[62:63], v[78:79] op_sel_hi:[1,0]
	ds_write2_b64 v210, v[80:81], v[82:83] offset1:17
	ds_write2_b64 v210, v[60:61], v[84:85] offset0:34 offset1:51
	v_pk_add_f32 v[60:61], v[54:55], v[114:115]
	v_mov_b32_e32 v103, v53
	v_pk_mul_f32 v[52:53], v[66:67], v[52:53] op_sel_hi:[1,0]
	v_pk_fma_f32 v[72:73], v[62:63], v[18:19], v[50:51] op_sel:[0,0,1] op_sel_hi:[1,1,0] neg_lo:[0,0,1] neg_hi:[0,0,1]
	v_pk_fma_f32 v[50:51], v[62:63], v[18:19], v[50:51] op_sel:[0,0,1] op_sel_hi:[1,0,0]
	v_pk_add_f32 v[60:61], v[60:61], v[76:77]
	v_pk_fma_f32 v[100:101], v[66:67], v[38:39], v[52:53] op_sel:[0,0,1] op_sel_hi:[1,1,0] neg_lo:[0,0,1] neg_hi:[0,0,1]
	v_pk_fma_f32 v[52:53], v[66:67], v[38:39], v[52:53] op_sel:[0,0,1] op_sel_hi:[1,0,0]
	v_mov_b32_e32 v73, v51
	v_pk_add_f32 v[60:61], v[60:61], v[58:59]
	v_mov_b32_e32 v101, v53
	v_pk_mul_f32 v[52:53], v[74:75], v[32:33] op_sel:[0,1]
	v_pk_add_f32 v[60:61], v[60:61], v[72:73]
	v_pk_fma_f32 v[66:67], v[74:75], v[32:33], v[52:53] op_sel:[0,0,1] op_sel_hi:[1,1,0] neg_lo:[0,0,1] neg_hi:[0,0,1]
	v_pk_fma_f32 v[52:53], v[74:75], v[32:33], v[52:53] op_sel:[0,0,1] op_sel_hi:[1,0,0]
	v_pk_add_f32 v[50:51], v[76:77], v[58:59]
	ds_write2_b64 v210, v[56:57], v[60:61] offset0:68 offset1:85
	v_pk_add_f32 v[56:57], v[114:115], v[72:73]
	v_mov_b32_e32 v52, v35
	v_pk_fma_f32 v[50:51], v[50:51], 0.5, v[54:55] op_sel_hi:[1,0,1] neg_lo:[1,0,0] neg_hi:[1,0,0]
	v_pk_add_f32 v[62:63], v[114:115], v[72:73] neg_lo:[0,1] neg_hi:[0,1]
	v_pk_add_f32 v[78:79], v[76:77], v[58:59] neg_lo:[0,1] neg_hi:[0,1]
	;; [unrolled: 1-line block ×4, first 2 shown]
	v_pk_fma_f32 v[54:55], v[56:57], 0.5, v[54:55] op_sel_hi:[1,0,1] neg_lo:[1,0,0] neg_hi:[1,0,0]
	v_pk_add_f32 v[56:57], v[76:77], v[114:115] neg_lo:[0,1] neg_hi:[0,1]
	v_pk_add_f32 v[58:59], v[58:59], v[72:73] neg_lo:[0,1] neg_hi:[0,1]
	v_mov_b32_e32 v67, v53
	v_pk_mul_f32 v[52:53], v[70:71], v[52:53] op_sel_hi:[1,0]
	v_pk_add_f32 v[112:113], v[112:113], v[116:117]
	v_pk_fma_f32 v[116:117], v[62:63], s[10:11], v[50:51] op_sel:[1,0,0] op_sel_hi:[0,0,1] neg_lo:[1,0,0] neg_hi:[1,0,0]
	v_pk_fma_f32 v[50:51], v[62:63], s[10:11], v[50:51] op_sel:[1,0,0] op_sel_hi:[0,0,1]
	v_pk_add_f32 v[56:57], v[56:57], v[58:59]
	v_pk_fma_f32 v[58:59], v[78:79], s[10:11], v[54:55] op_sel:[1,0,0] op_sel_hi:[0,0,1]
	v_pk_fma_f32 v[54:55], v[78:79], s[10:11], v[54:55] op_sel:[1,0,0] op_sel_hi:[0,0,1] neg_lo:[1,0,0] neg_hi:[1,0,0]
	v_pk_fma_f32 v[74:75], v[70:71], v[34:35], v[52:53] op_sel:[0,0,1] op_sel_hi:[1,1,0] neg_lo:[0,0,1] neg_hi:[0,0,1]
	v_pk_fma_f32 v[52:53], v[70:71], v[34:35], v[52:53] op_sel:[0,0,1] op_sel_hi:[1,0,0]
	v_pk_fma_f32 v[50:51], v[78:79], s[14:15], v[50:51] op_sel:[1,0,0] op_sel_hi:[0,0,1]
	v_pk_fma_f32 v[116:117], v[78:79], s[14:15], v[116:117] op_sel:[1,0,0] op_sel_hi:[0,0,1] neg_lo:[1,0,0] neg_hi:[1,0,0]
	v_pk_fma_f32 v[54:55], v[62:63], s[14:15], v[54:55] op_sel:[1,0,0] op_sel_hi:[0,0,1]
	v_pk_fma_f32 v[58:59], v[62:63], s[14:15], v[58:59] op_sel:[1,0,0] op_sel_hi:[0,0,1] neg_lo:[1,0,0] neg_hi:[1,0,0]
	v_mov_b32_e32 v75, v53
	v_pk_add_f32 v[52:53], v[100:101], v[66:67]
	v_mov_b32_e32 v119, v51
	v_mov_b32_e32 v51, v117
	;; [unrolled: 1-line block ×4, first 2 shown]
	v_pk_fma_f32 v[52:53], v[52:53], 0.5, v[10:11] op_sel_hi:[1,0,1] neg_lo:[1,0,0] neg_hi:[1,0,0]
	v_pk_add_f32 v[70:71], v[102:103], v[74:75] neg_lo:[0,1] neg_hi:[0,1]
	v_pk_add_f32 v[106:107], v[102:103], v[100:101] neg_lo:[0,1] neg_hi:[0,1]
	;; [unrolled: 1-line block ×3, first 2 shown]
	v_mov_b32_e32 v118, v116
	v_pk_fma_f32 v[50:51], v[112:113], s[8:9], v[50:51] op_sel_hi:[1,0,1]
	v_mov_b32_e32 v60, v58
	v_pk_fma_f32 v[54:55], v[56:57], s[8:9], v[54:55] op_sel_hi:[1,0,1]
	v_pk_add_f32 v[104:105], v[100:101], v[66:67] neg_lo:[0,1] neg_hi:[0,1]
	v_pk_add_f32 v[106:107], v[106:107], v[108:109]
	v_pk_fma_f32 v[108:109], v[70:71], s[10:11], v[52:53] op_sel:[1,0,0] op_sel_hi:[0,0,1] neg_lo:[1,0,0] neg_hi:[1,0,0]
	v_pk_fma_f32 v[52:53], v[70:71], s[10:11], v[52:53] op_sel:[1,0,0] op_sel_hi:[0,0,1]
	v_pk_fma_f32 v[118:119], v[112:113], s[8:9], v[118:119] op_sel_hi:[1,0,1]
	v_pk_fma_f32 v[60:61], v[56:57], s[8:9], v[60:61] op_sel_hi:[1,0,1]
	ds_write2_b64 v210, v[50:51], v[54:55] offset0:102 offset1:119
	ds_write2_b64 v210, v[60:61], v[118:119] offset0:136 offset1:153
	v_pk_add_f32 v[50:51], v[10:11], v[102:103]
	v_pk_fma_f32 v[52:53], v[104:105], s[14:15], v[52:53] op_sel:[1,0,0] op_sel_hi:[0,0,1]
	v_pk_fma_f32 v[108:109], v[104:105], s[14:15], v[108:109] op_sel:[1,0,0] op_sel_hi:[0,0,1] neg_lo:[1,0,0] neg_hi:[1,0,0]
	v_pk_add_f32 v[50:51], v[50:51], v[100:101]
	v_mov_b32_e32 v111, v53
	v_pk_add_f32 v[50:51], v[50:51], v[66:67]
	v_mov_b32_e32 v53, v109
	v_pk_add_f32 v[50:51], v[50:51], v[74:75]
	v_pk_fma_f32 v[52:53], v[106:107], s[8:9], v[52:53] op_sel_hi:[1,0,1]
	ds_write2_b64 v9, v[50:51], v[52:53] offset0:170 offset1:187
	v_pk_add_f32 v[50:51], v[102:103], v[74:75]
	v_pk_add_f32 v[52:53], v[66:67], v[74:75] neg_lo:[0,1] neg_hi:[0,1]
	v_pk_fma_f32 v[10:11], v[50:51], 0.5, v[10:11] op_sel_hi:[1,0,1] neg_lo:[1,0,0] neg_hi:[1,0,0]
	v_pk_add_f32 v[50:51], v[100:101], v[102:103] neg_lo:[0,1] neg_hi:[0,1]
	v_pk_add_f32 v[58:59], v[94:95], v[96:97] neg_lo:[0,1] neg_hi:[0,1]
	v_pk_add_f32 v[50:51], v[50:51], v[52:53]
	v_pk_fma_f32 v[52:53], v[104:105], s[10:11], v[10:11] op_sel:[1,0,0] op_sel_hi:[0,0,1]
	v_pk_fma_f32 v[10:11], v[104:105], s[10:11], v[10:11] op_sel:[1,0,0] op_sel_hi:[0,0,1] neg_lo:[1,0,0] neg_hi:[1,0,0]
	v_pk_fma_f32 v[10:11], v[70:71], s[14:15], v[10:11] op_sel:[1,0,0] op_sel_hi:[0,0,1]
	v_pk_fma_f32 v[52:53], v[70:71], s[14:15], v[52:53] op_sel:[1,0,0] op_sel_hi:[0,0,1] neg_lo:[1,0,0] neg_hi:[1,0,0]
	v_mov_b32_e32 v54, v52
	v_mov_b32_e32 v55, v11
	;; [unrolled: 1-line block ×3, first 2 shown]
	v_pk_fma_f32 v[54:55], v[50:51], s[8:9], v[54:55] op_sel_hi:[1,0,1]
	v_pk_fma_f32 v[10:11], v[50:51], s[8:9], v[10:11] op_sel_hi:[1,0,1]
	ds_write2_b64 v9, v[10:11], v[54:55] offset0:204 offset1:221
	v_pk_add_f32 v[10:11], v[96:97], v[68:69]
	v_pk_add_f32 v[50:51], v[94:95], v[64:65] neg_lo:[0,1] neg_hi:[0,1]
	v_pk_fma_f32 v[10:11], v[10:11], 0.5, v[12:13] op_sel_hi:[1,0,1] neg_lo:[1,0,0] neg_hi:[1,0,0]
	v_pk_mul_f32 v[52:53], v[50:51], s[10:11] op_sel_hi:[1,0]
	v_pk_add_f32 v[54:55], v[96:97], v[68:69] neg_lo:[0,1] neg_hi:[0,1]
	v_pk_add_f32 v[60:61], v[64:65], v[68:69] neg_lo:[0,1] neg_hi:[0,1]
	v_pk_mul_f32 v[56:57], v[54:55], s[14:15] op_sel_hi:[1,0]
	v_pk_add_f32 v[58:59], v[58:59], v[60:61]
	v_pk_add_f32 v[60:61], v[10:11], v[52:53] op_sel:[0,1] op_sel_hi:[1,0]
	v_pk_add_f32 v[10:11], v[10:11], v[52:53] op_sel:[0,1] op_sel_hi:[1,0] neg_lo:[0,1] neg_hi:[0,1]
	v_pk_add_f32 v[52:53], v[60:61], v[56:57] op_sel:[0,1] op_sel_hi:[1,0]
	v_pk_add_f32 v[10:11], v[10:11], v[56:57] op_sel:[0,1] op_sel_hi:[1,0] neg_lo:[0,1] neg_hi:[0,1]
	v_mov_b32_e32 v56, v52
	v_mov_b32_e32 v57, v11
	v_pk_fma_f32 v[56:57], v[58:59], s[8:9], v[56:57] op_sel_hi:[1,0,1]
	ds_write2_b64 v1, v[98:99], v[56:57] offset0:127 offset1:144
	v_pk_add_f32 v[56:57], v[94:95], v[64:65]
	v_pk_add_f32 v[60:61], v[68:69], v[64:65] neg_lo:[0,1] neg_hi:[0,1]
	v_pk_fma_f32 v[12:13], v[56:57], 0.5, v[12:13] op_sel_hi:[1,0,1] neg_lo:[1,0,0] neg_hi:[1,0,0]
	v_pk_add_f32 v[56:57], v[96:97], v[94:95] neg_lo:[0,1] neg_hi:[0,1]
	v_pk_mul_f32 v[54:55], v[54:55], s[10:11] op_sel_hi:[1,0]
	v_pk_add_f32 v[56:57], v[56:57], v[60:61]
	v_pk_mul_f32 v[50:51], v[50:51], s[14:15] op_sel_hi:[1,0]
	v_pk_add_f32 v[60:61], v[12:13], v[54:55] op_sel:[0,1] op_sel_hi:[1,0] neg_lo:[0,1] neg_hi:[0,1]
	v_pk_add_f32 v[12:13], v[12:13], v[54:55] op_sel:[0,1] op_sel_hi:[1,0]
	v_mov_b32_e32 v11, v53
	v_pk_add_f32 v[12:13], v[12:13], v[50:51] op_sel:[0,1] op_sel_hi:[1,0] neg_lo:[0,1] neg_hi:[0,1]
	v_pk_add_f32 v[50:51], v[60:61], v[50:51] op_sel:[0,1] op_sel_hi:[1,0]
	v_mov_b32_e32 v55, v13
	v_mov_b32_e32 v54, v50
	;; [unrolled: 1-line block ×3, first 2 shown]
	v_pk_fma_f32 v[54:55], v[56:57], s[8:9], v[54:55] op_sel_hi:[1,0,1]
	v_pk_fma_f32 v[12:13], v[56:57], s[8:9], v[12:13] op_sel_hi:[1,0,1]
	v_add_u32_e32 v1, 0x800, v5
	v_pk_fma_f32 v[10:11], v[58:59], s[8:9], v[10:11] op_sel_hi:[1,0,1]
	ds_write2_b64 v1, v[54:55], v[12:13] offset0:33 offset1:50
	ds_write_b64 v5, v[10:11] offset:2584
	v_pk_add_f32 v[10:11], v[86:87], v[88:89]
	v_pk_add_f32 v[12:13], v[6:7], v[90:91] neg_lo:[0,1] neg_hi:[0,1]
	v_pk_fma_f32 v[10:11], v[10:11], 0.5, v[48:49] op_sel_hi:[1,0,1] neg_lo:[1,0,0] neg_hi:[1,0,0]
	v_pk_mul_f32 v[50:51], v[12:13], s[10:11] op_sel_hi:[1,0]
	v_pk_add_f32 v[52:53], v[86:87], v[88:89] neg_lo:[0,1] neg_hi:[0,1]
	v_pk_add_f32 v[56:57], v[6:7], v[86:87] neg_lo:[0,1] neg_hi:[0,1]
	;; [unrolled: 1-line block ×3, first 2 shown]
	v_pk_mul_f32 v[54:55], v[52:53], s[14:15] op_sel_hi:[1,0]
	v_pk_add_f32 v[56:57], v[56:57], v[58:59]
	v_pk_add_f32 v[58:59], v[10:11], v[50:51] op_sel:[0,1] op_sel_hi:[1,0]
	v_pk_add_f32 v[10:11], v[10:11], v[50:51] op_sel:[0,1] op_sel_hi:[1,0] neg_lo:[0,1] neg_hi:[0,1]
	v_pk_add_f32 v[50:51], v[58:59], v[54:55] op_sel:[0,1] op_sel_hi:[1,0]
	v_pk_add_f32 v[10:11], v[10:11], v[54:55] op_sel:[0,1] op_sel_hi:[1,0] neg_lo:[0,1] neg_hi:[0,1]
	v_mov_b32_e32 v54, v50
	v_mov_b32_e32 v55, v11
	v_pk_fma_f32 v[54:55], v[56:57], s[8:9], v[54:55] op_sel_hi:[1,0,1]
	v_add_u32_e32 v1, 0x800, v3
	ds_write2_b64 v1, v[92:93], v[54:55] offset0:84 offset1:101
	v_pk_add_f32 v[54:55], v[6:7], v[90:91]
	v_pk_add_f32 v[6:7], v[86:87], v[6:7] neg_lo:[0,1] neg_hi:[0,1]
	v_pk_fma_f32 v[48:49], v[54:55], 0.5, v[48:49] op_sel_hi:[1,0,1] neg_lo:[1,0,0] neg_hi:[1,0,0]
	v_pk_add_f32 v[54:55], v[88:89], v[90:91] neg_lo:[0,1] neg_hi:[0,1]
	v_pk_mul_f32 v[52:53], v[52:53], s[10:11] op_sel_hi:[1,0]
	v_pk_add_f32 v[6:7], v[6:7], v[54:55]
	v_pk_mul_f32 v[12:13], v[12:13], s[14:15] op_sel_hi:[1,0]
	v_pk_add_f32 v[54:55], v[48:49], v[52:53] op_sel:[0,1] op_sel_hi:[1,0] neg_lo:[0,1] neg_hi:[0,1]
	v_pk_add_f32 v[48:49], v[48:49], v[52:53] op_sel:[0,1] op_sel_hi:[1,0]
	v_mov_b32_e32 v110, v108
	v_pk_add_f32 v[48:49], v[48:49], v[12:13] op_sel:[0,1] op_sel_hi:[1,0] neg_lo:[0,1] neg_hi:[0,1]
	v_pk_add_f32 v[12:13], v[54:55], v[12:13] op_sel:[0,1] op_sel_hi:[1,0]
	v_mov_b32_e32 v53, v49
	v_mov_b32_e32 v52, v12
	;; [unrolled: 1-line block ×3, first 2 shown]
	v_pk_fma_f32 v[52:53], v[6:7], s[8:9], v[52:53] op_sel_hi:[1,0,1]
	v_pk_fma_f32 v[6:7], v[6:7], s[8:9], v[48:49] op_sel_hi:[1,0,1]
	v_mov_b32_e32 v11, v51
	v_pk_fma_f32 v[110:111], v[106:107], s[8:9], v[110:111] op_sel_hi:[1,0,1]
	ds_write2_b64 v1, v[52:53], v[6:7] offset0:118 offset1:135
	v_pk_fma_f32 v[6:7], v[56:57], s[8:9], v[10:11] op_sel_hi:[1,0,1]
	v_lshlrev_b32_e32 v1, 5, v2
	ds_write_b64 v9, v[110:111] offset:1904
	ds_write_b64 v3, v[6:7] offset:3264
	s_waitcnt lgkmcnt(0)
	; wave barrier
	s_waitcnt lgkmcnt(0)
	global_load_dwordx4 v[40:43], v1, s[0:1] offset:544
	global_load_dwordx4 v[10:13], v1, s[0:1] offset:560
	v_lshlrev_b32_e32 v1, 5, v4
	global_load_dwordx4 v[36:39], v1, s[0:1] offset:544
	global_load_dwordx4 v[32:35], v1, s[0:1] offset:560
	;; [unrolled: 1-line block ×4, first 2 shown]
	v_lshlrev_b32_e32 v1, 5, v30
	global_load_dwordx4 v[52:55], v1, s[0:1] offset:560
	global_load_dwordx4 v[76:79], v1, s[0:1] offset:544
	v_accvgpr_write_b32 a77, v47
	v_accvgpr_write_b32 a76, v46
	;; [unrolled: 1-line block ×4, first 2 shown]
	global_load_dwordx4 v[44:47], v0, s[0:1] offset:560
	global_load_dwordx4 v[48:51], v0, s[0:1] offset:544
	ds_read2_b64 v[90:93], v210 offset0:136 offset1:153
	ds_read2_b64 v[104:107], v210 offset0:34 offset1:51
	;; [unrolled: 1-line block ×6, first 2 shown]
	s_waitcnt vmcnt(9) lgkmcnt(5)
	v_pk_mul_f32 v[2:3], v[90:91], v[40:41] op_sel:[0,1]
	s_nop 0
	v_pk_fma_f32 v[0:1], v[90:91], v[40:41], v[2:3] op_sel:[0,0,1] op_sel_hi:[1,1,0] neg_lo:[0,0,1] neg_hi:[0,0,1]
	v_pk_fma_f32 v[2:3], v[90:91], v[40:41], v[2:3] op_sel:[0,0,1] op_sel_hi:[1,0,0]
	s_waitcnt vmcnt(8) lgkmcnt(2)
	v_pk_mul_f32 v[6:7], v[98:99], v[10:11] op_sel:[0,1]
	v_mov_b32_e32 v2, v43
	v_pk_mul_f32 v[4:5], v[96:97], v[2:3] op_sel_hi:[1,0]
	v_mov_b32_e32 v1, v3
	v_pk_fma_f32 v[2:3], v[96:97], v[42:43], v[4:5] op_sel:[0,0,1] op_sel_hi:[1,1,0] neg_lo:[0,0,1] neg_hi:[0,0,1]
	v_pk_fma_f32 v[4:5], v[96:97], v[42:43], v[4:5] op_sel:[0,0,1] op_sel_hi:[1,0,0]
	v_accvgpr_write_b32 a97, v13
	v_mov_b32_e32 v3, v5
	v_pk_fma_f32 v[4:5], v[98:99], v[10:11], v[6:7] op_sel:[0,0,1] op_sel_hi:[1,1,0] neg_lo:[0,0,1] neg_hi:[0,0,1]
	v_pk_fma_f32 v[6:7], v[98:99], v[10:11], v[6:7] op_sel:[0,0,1] op_sel_hi:[1,0,0]
	v_accvgpr_write_b32 a96, v12
	v_mov_b32_e32 v6, v13
	s_waitcnt lgkmcnt(1)
	v_pk_mul_f32 v[8:9], v[110:111], v[6:7] op_sel_hi:[1,0]
	v_mov_b32_e32 v5, v7
	v_pk_fma_f32 v[6:7], v[110:111], v[12:13], v[8:9] op_sel:[0,0,1] op_sel_hi:[1,1,0] neg_lo:[0,0,1] neg_hi:[0,0,1]
	v_pk_fma_f32 v[8:9], v[110:111], v[12:13], v[8:9] op_sel:[0,0,1] op_sel_hi:[1,0,0]
	v_accvgpr_write_b32 a95, v11
	v_mov_b32_e32 v7, v9
	v_accvgpr_write_b32 a94, v10
	v_pk_add_f32 v[10:11], v[2:3], v[4:5]
	v_pk_add_f32 v[8:9], v[0:1], v[2:3] neg_lo:[0,1] neg_hi:[0,1]
	v_pk_add_f32 v[12:13], v[6:7], v[4:5] neg_lo:[0,1] neg_hi:[0,1]
	;; [unrolled: 1-line block ×4, first 2 shown]
	v_pk_add_f32 v[8:9], v[8:9], v[12:13]
	v_pk_add_f32 v[12:13], v[0:1], v[6:7]
	;; [unrolled: 1-line block ×3, first 2 shown]
	v_pk_add_f32 v[88:89], v[0:1], v[6:7] neg_lo:[0,1] neg_hi:[0,1]
	v_pk_fma_f32 v[10:11], v[10:11], 0.5, v[106:107] op_sel_hi:[1,0,1] neg_lo:[1,0,0] neg_hi:[1,0,0]
	v_pk_add_f32 v[96:97], v[2:3], v[4:5] neg_lo:[0,1] neg_hi:[0,1]
	v_pk_fma_f32 v[98:99], v[12:13], 0.5, v[106:107] op_sel_hi:[1,0,1] neg_lo:[1,0,0] neg_hi:[1,0,0]
	v_pk_fma_f32 v[12:13], v[88:89], s[10:11], v[10:11] op_sel:[1,0,0] op_sel_hi:[0,0,1] neg_lo:[1,0,0] neg_hi:[1,0,0]
	v_pk_fma_f32 v[10:11], v[88:89], s[10:11], v[10:11] op_sel:[1,0,0] op_sel_hi:[0,0,1]
	v_pk_fma_f32 v[10:11], v[96:97], s[14:15], v[10:11] op_sel:[1,0,0] op_sel_hi:[0,0,1]
	v_pk_fma_f32 v[12:13], v[96:97], s[14:15], v[12:13] op_sel:[1,0,0] op_sel_hi:[0,0,1] neg_lo:[1,0,0] neg_hi:[1,0,0]
	v_mov_b32_e32 v110, v12
	v_mov_b32_e32 v111, v11
	v_pk_fma_f32 v[30:31], v[8:9], s[8:9], v[110:111] op_sel_hi:[1,0,1]
	ds_read2_b64 v[110:113], v210 offset0:238 offset1:255
	v_pk_fma_f32 v[102:103], v[96:97], s[10:11], v[98:99] op_sel:[1,0,0] op_sel_hi:[0,0,1] neg_lo:[1,0,0] neg_hi:[1,0,0]
	v_pk_fma_f32 v[96:97], v[96:97], s[10:11], v[98:99] op_sel:[1,0,0] op_sel_hi:[0,0,1]
	v_pk_fma_f32 v[96:97], v[88:89], s[14:15], v[96:97] op_sel:[1,0,0] op_sel_hi:[0,0,1] neg_lo:[1,0,0] neg_hi:[1,0,0]
	v_pk_fma_f32 v[88:89], v[88:89], s[14:15], v[102:103] op_sel:[1,0,0] op_sel_hi:[0,0,1]
	s_waitcnt vmcnt(7)
	v_mov_b32_e32 v12, v39
	v_mov_b32_e32 v98, v96
	;; [unrolled: 1-line block ×4, first 2 shown]
	s_waitcnt lgkmcnt(0)
	v_pk_mul_f32 v[96:97], v[110:111], v[12:13] op_sel_hi:[1,0]
	v_pk_fma_f32 v[88:89], v[90:91], s[8:9], v[88:89] op_sel_hi:[1,0,1]
	v_pk_fma_f32 v[90:91], v[90:91], s[8:9], v[98:99] op_sel_hi:[1,0,1]
	v_pk_fma_f32 v[98:99], v[110:111], v[38:39], v[96:97] op_sel:[0,0,1] op_sel_hi:[1,1,0] neg_lo:[0,0,1] neg_hi:[0,0,1]
	v_pk_fma_f32 v[96:97], v[110:111], v[38:39], v[96:97] op_sel:[0,0,1] op_sel_hi:[1,0,0]
	ds_read_b64 v[102:103], v210 offset:3264
	v_mov_b32_e32 v99, v97
	s_waitcnt vmcnt(6)
	v_pk_mul_f32 v[96:97], v[100:101], v[32:33] op_sel:[0,1]
	v_mov_b32_e32 v12, v35
	v_pk_fma_f32 v[110:111], v[100:101], v[32:33], v[96:97] op_sel:[0,0,1] op_sel_hi:[1,1,0] neg_lo:[0,0,1] neg_hi:[0,0,1]
	v_pk_fma_f32 v[96:97], v[100:101], v[32:33], v[96:97] op_sel:[0,0,1] op_sel_hi:[1,0,0]
	s_waitcnt lgkmcnt(0)
	v_pk_mul_f32 v[122:123], v[102:103], v[12:13] op_sel_hi:[1,0]
	v_mov_b32_e32 v111, v97
	v_pk_mul_f32 v[96:97], v[92:93], v[36:37] op_sel:[0,1]
	v_pk_fma_f32 v[124:125], v[102:103], v[34:35], v[122:123] op_sel:[0,0,1] op_sel_hi:[1,1,0] neg_lo:[0,0,1] neg_hi:[0,0,1]
	v_pk_fma_f32 v[100:101], v[92:93], v[36:37], v[96:97] op_sel:[0,0,1] op_sel_hi:[1,1,0] neg_lo:[0,0,1] neg_hi:[0,0,1]
	v_pk_fma_f32 v[92:93], v[92:93], v[36:37], v[96:97] op_sel:[0,0,1] op_sel_hi:[1,0,0]
	v_pk_fma_f32 v[102:103], v[102:103], v[34:35], v[122:123] op_sel:[0,0,1] op_sel_hi:[1,0,0]
	v_mov_b32_e32 v101, v93
	v_pk_add_f32 v[96:97], v[114:115], v[100:101]
	v_mov_b32_e32 v92, v93
	v_mov_b32_e32 v93, v100
	v_pk_add_f32 v[96:97], v[96:97], v[98:99]
	v_pk_add_f32 v[118:119], v[98:99], v[110:111]
	v_mov_b32_e32 v125, v103
	v_mov_b32_e32 v102, v103
	;; [unrolled: 1-line block ×3, first 2 shown]
	v_pk_add_f32 v[96:97], v[96:97], v[110:111]
	v_pk_fma_f32 v[118:119], v[118:119], 0.5, v[114:115] op_sel_hi:[1,0,1] neg_lo:[1,0,0] neg_hi:[1,0,0]
	v_accvgpr_write_b32 a89, v35
	v_pk_add_f32 v[122:123], v[100:101], v[124:125]
	v_pk_add_f32 v[92:93], v[92:93], v[102:103] neg_lo:[0,1] neg_hi:[0,1]
	v_pk_add_f32 v[102:103], v[100:101], v[98:99] neg_lo:[0,1] neg_hi:[0,1]
	;; [unrolled: 1-line block ×4, first 2 shown]
	v_accvgpr_write_b32 a88, v34
	v_accvgpr_write_b32 a87, v33
	v_accvgpr_write_b32 a86, v32
	v_pk_add_f32 v[102:103], v[102:103], v[126:127]
	v_pk_fma_f32 v[126:127], v[92:93], s[10:11], v[118:119] op_sel_hi:[1,0,1]
	v_pk_fma_f32 v[114:115], v[122:123], 0.5, v[114:115] op_sel_hi:[1,0,1] neg_lo:[1,0,0] neg_hi:[1,0,0]
	v_pk_add_f32 v[32:33], v[96:97], v[124:125]
	v_pk_fma_f32 v[96:97], v[92:93], s[10:11], v[118:119] op_sel_hi:[1,0,1] neg_lo:[1,0,0] neg_hi:[1,0,0]
	v_pk_fma_f32 v[122:123], v[120:121], s[10:11], v[114:115] op_sel:[1,0,0] op_sel_hi:[0,0,1] neg_lo:[1,0,0] neg_hi:[1,0,0]
	v_pk_fma_f32 v[118:119], v[120:121], s[14:15], v[96:97] op_sel:[1,0,0] op_sel_hi:[0,0,1] neg_lo:[1,0,0] neg_hi:[1,0,0]
	v_pk_fma_f32 v[126:127], v[120:121], s[14:15], v[126:127] op_sel:[1,0,0] op_sel_hi:[0,0,1]
	v_pk_fma_f32 v[114:115], v[120:121], s[10:11], v[114:115] op_sel:[1,0,0] op_sel_hi:[0,0,1]
	v_accvgpr_write_b32 a101, v43
	v_mov_b32_e32 v97, v119
	v_mov_b32_e32 v119, v127
	v_pk_fma_f32 v[114:115], v[92:93], s[14:15], v[114:115] op_sel_hi:[1,0,1] neg_lo:[1,0,0] neg_hi:[1,0,0]
	v_pk_fma_f32 v[92:93], v[92:93], s[14:15], v[122:123] op_sel_hi:[1,0,1]
	v_pk_add_f32 v[98:99], v[98:99], v[100:101] neg_lo:[0,1] neg_hi:[0,1]
	v_pk_add_f32 v[100:101], v[110:111], v[124:125] neg_lo:[0,1] neg_hi:[0,1]
	v_accvgpr_write_b32 a100, v42
	v_accvgpr_write_b32 a99, v41
	;; [unrolled: 1-line block ×4, first 2 shown]
	v_pk_fma_f32 v[40:41], v[102:103], s[8:9], v[118:119] op_sel_hi:[1,0,1]
	v_mov_b32_e32 v118, v92
	v_mov_b32_e32 v119, v115
	v_pk_add_f32 v[100:101], v[98:99], v[100:101]
	v_accvgpr_write_b32 a92, v38
	v_accvgpr_write_b32 a91, v37
	;; [unrolled: 1-line block ×3, first 2 shown]
	v_mov_b32_e32 v96, v126
	v_pk_fma_f32 v[36:37], v[100:101], s[8:9], v[118:119] op_sel_hi:[1,0,1]
	ds_read2_b64 v[118:121], v210 offset0:102 offset1:119
	ds_read2_b64 v[122:125], v210 offset1:17
	ds_read2_b64 v[126:129], v210 offset0:170 offset1:187
	ds_read2_b64 v[130:133], v14 offset0:16 offset1:33
	ds_read2_b64 v[134:137], v14 offset0:84 offset1:101
	v_mov_b32_e32 v115, v93
	s_waitcnt vmcnt(2) lgkmcnt(4)
	v_pk_mul_f32 v[92:93], v[118:119], v[76:77] op_sel:[0,1]
	v_mov_b32_e32 v12, v79
	v_pk_fma_f32 v[110:111], v[118:119], v[76:77], v[92:93] op_sel:[0,0,1] op_sel_hi:[1,1,0] neg_lo:[0,0,1] neg_hi:[0,0,1]
	v_pk_fma_f32 v[92:93], v[118:119], v[76:77], v[92:93] op_sel:[0,0,1] op_sel_hi:[1,0,0]
	v_pk_fma_f32 v[38:39], v[100:101], s[8:9], v[114:115] op_sel_hi:[1,0,1]
	v_mov_b32_e32 v111, v93
	s_waitcnt lgkmcnt(2)
	v_pk_mul_f32 v[92:93], v[128:129], v[12:13] op_sel_hi:[1,0]
	v_mov_b32_e32 v12, v55
	v_pk_fma_f32 v[114:115], v[128:129], v[78:79], v[92:93] op_sel:[0,0,1] op_sel_hi:[1,1,0] neg_lo:[0,0,1] neg_hi:[0,0,1]
	v_pk_fma_f32 v[92:93], v[128:129], v[78:79], v[92:93] op_sel:[0,0,1] op_sel_hi:[1,0,0]
	v_add_u32_e32 v11, 0x400, v15
	v_mov_b32_e32 v115, v93
	s_waitcnt lgkmcnt(1)
	v_pk_mul_f32 v[92:93], v[130:131], v[52:53] op_sel:[0,1]
	v_pk_add_f32 v[0:1], v[106:107], v[0:1]
	v_pk_fma_f32 v[118:119], v[130:131], v[52:53], v[92:93] op_sel:[0,0,1] op_sel_hi:[1,1,0] neg_lo:[0,0,1] neg_hi:[0,0,1]
	v_pk_fma_f32 v[92:93], v[130:131], v[52:53], v[92:93] op_sel:[0,0,1] op_sel_hi:[1,0,0]
	s_waitcnt vmcnt(0)
	v_pk_mul_f32 v[130:131], v[120:121], v[48:49] op_sel:[0,1]
	v_mov_b32_e32 v119, v93
	s_waitcnt lgkmcnt(0)
	v_pk_mul_f32 v[92:93], v[136:137], v[12:13] op_sel_hi:[1,0]
	v_mov_b32_e32 v12, v51
	v_pk_fma_f32 v[128:129], v[136:137], v[54:55], v[92:93] op_sel:[0,0,1] op_sel_hi:[1,1,0] neg_lo:[0,0,1] neg_hi:[0,0,1]
	v_pk_fma_f32 v[92:93], v[136:137], v[54:55], v[92:93] op_sel:[0,0,1] op_sel_hi:[1,0,0]
	v_pk_fma_f32 v[136:137], v[120:121], v[48:49], v[130:131] op_sel:[0,0,1] op_sel_hi:[1,1,0] neg_lo:[0,0,1] neg_hi:[0,0,1]
	v_pk_fma_f32 v[120:121], v[120:121], v[48:49], v[130:131] op_sel:[0,0,1] op_sel_hi:[1,0,0]
	v_mov_b32_e32 v129, v93
	v_mov_b32_e32 v137, v121
	v_pk_mul_f32 v[120:121], v[94:95], v[12:13] op_sel_hi:[1,0]
	v_mov_b32_e32 v12, v47
	v_pk_fma_f32 v[130:131], v[94:95], v[50:51], v[120:121] op_sel:[0,0,1] op_sel_hi:[1,1,0] neg_lo:[0,0,1] neg_hi:[0,0,1]
	v_pk_fma_f32 v[94:95], v[94:95], v[50:51], v[120:121] op_sel:[0,0,1] op_sel_hi:[1,0,0]
	v_pk_add_f32 v[92:93], v[124:125], v[110:111]
	v_mov_b32_e32 v131, v95
	v_pk_mul_f32 v[94:95], v[132:133], v[44:45] op_sel:[0,1]
	v_pk_add_f32 v[92:93], v[92:93], v[114:115]
	v_pk_fma_f32 v[120:121], v[132:133], v[44:45], v[94:95] op_sel:[0,0,1] op_sel_hi:[1,1,0] neg_lo:[0,0,1] neg_hi:[0,0,1]
	v_pk_fma_f32 v[94:95], v[132:133], v[44:45], v[94:95] op_sel:[0,0,1] op_sel_hi:[1,0,0]
	v_pk_add_f32 v[92:93], v[92:93], v[118:119]
	v_mov_b32_e32 v121, v95
	v_pk_mul_f32 v[94:95], v[108:109], v[12:13] op_sel_hi:[1,0]
	v_mov_b32_e32 v12, v87
	v_pk_fma_f32 v[132:133], v[108:109], v[46:47], v[94:95] op_sel:[0,0,1] op_sel_hi:[1,1,0] neg_lo:[0,0,1] neg_hi:[0,0,1]
	v_pk_fma_f32 v[94:95], v[108:109], v[46:47], v[94:95] op_sel:[0,0,1] op_sel_hi:[1,0,0]
	v_pk_mul_f32 v[108:109], v[116:117], v[84:85] op_sel:[0,1]
	v_mov_b32_e32 v133, v95
	v_pk_fma_f32 v[138:139], v[116:117], v[84:85], v[108:109] op_sel:[0,0,1] op_sel_hi:[1,1,0] neg_lo:[0,0,1] neg_hi:[0,0,1]
	v_pk_fma_f32 v[108:109], v[116:117], v[84:85], v[108:109] op_sel:[0,0,1] op_sel_hi:[1,0,0]
	v_pk_add_f32 v[94:95], v[104:105], v[136:137]
	v_mov_b32_e32 v139, v109
	v_pk_mul_f32 v[108:109], v[126:127], v[12:13] op_sel_hi:[1,0]
	v_mov_b32_e32 v12, v83
	v_pk_fma_f32 v[116:117], v[126:127], v[86:87], v[108:109] op_sel:[0,0,1] op_sel_hi:[1,1,0] neg_lo:[0,0,1] neg_hi:[0,0,1]
	v_pk_fma_f32 v[108:109], v[126:127], v[86:87], v[108:109] op_sel:[0,0,1] op_sel_hi:[1,0,0]
	v_pk_add_f32 v[148:149], v[122:123], v[138:139]
	v_mov_b32_e32 v117, v109
	v_pk_mul_f32 v[108:109], v[112:113], v[80:81] op_sel:[0,1]
	v_pk_add_f32 v[148:149], v[148:149], v[116:117]
	v_pk_fma_f32 v[126:127], v[112:113], v[80:81], v[108:109] op_sel:[0,0,1] op_sel_hi:[1,1,0] neg_lo:[0,0,1] neg_hi:[0,0,1]
	v_pk_fma_f32 v[108:109], v[112:113], v[80:81], v[108:109] op_sel:[0,0,1] op_sel_hi:[1,0,0]
	v_pk_add_f32 v[142:143], v[138:139], v[116:117] neg_lo:[0,1] neg_hi:[0,1]
	v_mov_b32_e32 v127, v109
	v_pk_mul_f32 v[108:109], v[134:135], v[12:13] op_sel_hi:[1,0]
	v_pk_add_f32 v[148:149], v[148:149], v[126:127]
	v_pk_fma_f32 v[112:113], v[134:135], v[82:83], v[108:109] op_sel:[0,0,1] op_sel_hi:[1,1,0] neg_lo:[0,0,1] neg_hi:[0,0,1]
	v_pk_fma_f32 v[108:109], v[134:135], v[82:83], v[108:109] op_sel:[0,0,1] op_sel_hi:[1,0,0]
	v_pk_add_f32 v[140:141], v[116:117], v[126:127] neg_lo:[0,1] neg_hi:[0,1]
	v_mov_b32_e32 v113, v109
	v_pk_add_f32 v[148:149], v[148:149], v[112:113]
	v_pk_add_f32 v[108:109], v[116:117], v[126:127]
	ds_write_b64 v210, v[148:149]
	v_pk_add_f32 v[148:149], v[138:139], v[112:113]
	v_pk_fma_f32 v[108:109], v[108:109], 0.5, v[122:123] op_sel_hi:[1,0,1] neg_lo:[1,0,0] neg_hi:[1,0,0]
	v_pk_add_f32 v[134:135], v[138:139], v[112:113] neg_lo:[0,1] neg_hi:[0,1]
	v_pk_add_f32 v[144:145], v[112:113], v[126:127] neg_lo:[0,1] neg_hi:[0,1]
	v_pk_fma_f32 v[122:123], v[148:149], 0.5, v[122:123] op_sel_hi:[1,0,1] neg_lo:[1,0,0] neg_hi:[1,0,0]
	v_pk_add_f32 v[116:117], v[116:117], v[138:139] neg_lo:[0,1] neg_hi:[0,1]
	v_pk_add_f32 v[112:113], v[126:127], v[112:113] neg_lo:[0,1] neg_hi:[0,1]
	v_pk_add_f32 v[142:143], v[142:143], v[144:145]
	v_pk_add_f32 v[112:113], v[116:117], v[112:113]
	v_pk_fma_f32 v[116:117], v[140:141], s[10:11], v[122:123] op_sel:[1,0,0] op_sel_hi:[0,0,1] neg_lo:[1,0,0] neg_hi:[1,0,0]
	v_pk_fma_f32 v[122:123], v[140:141], s[10:11], v[122:123] op_sel:[1,0,0] op_sel_hi:[0,0,1]
	v_pk_fma_f32 v[144:145], v[134:135], s[10:11], v[108:109] op_sel:[1,0,0] op_sel_hi:[0,0,1]
	v_pk_fma_f32 v[108:109], v[134:135], s[10:11], v[108:109] op_sel:[1,0,0] op_sel_hi:[0,0,1] neg_lo:[1,0,0] neg_hi:[1,0,0]
	v_pk_fma_f32 v[122:123], v[134:135], s[14:15], v[122:123] op_sel:[1,0,0] op_sel_hi:[0,0,1] neg_lo:[1,0,0] neg_hi:[1,0,0]
	v_pk_fma_f32 v[116:117], v[134:135], s[14:15], v[116:117] op_sel:[1,0,0] op_sel_hi:[0,0,1]
	v_pk_fma_f32 v[108:109], v[140:141], s[14:15], v[108:109] op_sel:[1,0,0] op_sel_hi:[0,0,1] neg_lo:[1,0,0] neg_hi:[1,0,0]
	v_pk_fma_f32 v[144:145], v[140:141], s[14:15], v[144:145] op_sel:[1,0,0] op_sel_hi:[0,0,1]
	v_mov_b32_e32 v126, v116
	v_mov_b32_e32 v127, v123
	;; [unrolled: 1-line block ×5, first 2 shown]
	v_pk_fma_f32 v[126:127], v[112:113], s[8:9], v[126:127] op_sel_hi:[1,0,1]
	v_pk_fma_f32 v[112:113], v[112:113], s[8:9], v[122:123] op_sel_hi:[1,0,1]
	v_mov_b32_e32 v109, v145
	v_pk_add_f32 v[116:117], v[114:115], v[118:119]
	v_pk_add_f32 v[122:123], v[110:111], v[128:129] neg_lo:[0,1] neg_hi:[0,1]
	v_pk_fma_f32 v[146:147], v[142:143], s[8:9], v[146:147] op_sel_hi:[1,0,1]
	v_pk_fma_f32 v[108:109], v[142:143], s[8:9], v[108:109] op_sel_hi:[1,0,1]
	v_pk_fma_f32 v[116:117], v[116:117], 0.5, v[124:125] op_sel_hi:[1,0,1] neg_lo:[1,0,0] neg_hi:[1,0,0]
	v_pk_mul_f32 v[134:135], v[122:123], s[10:11] op_sel_hi:[1,0]
	v_pk_add_f32 v[138:139], v[114:115], v[118:119] neg_lo:[0,1] neg_hi:[0,1]
	v_pk_add_f32 v[142:143], v[110:111], v[114:115] neg_lo:[0,1] neg_hi:[0,1]
	;; [unrolled: 1-line block ×3, first 2 shown]
	v_pk_mul_f32 v[140:141], v[138:139], s[14:15] op_sel_hi:[1,0]
	v_pk_add_f32 v[142:143], v[142:143], v[144:145]
	v_pk_add_f32 v[144:145], v[116:117], v[134:135] op_sel:[0,1] op_sel_hi:[1,0]
	v_pk_add_f32 v[116:117], v[116:117], v[134:135] op_sel:[0,1] op_sel_hi:[1,0] neg_lo:[0,1] neg_hi:[0,1]
	v_pk_add_f32 v[134:135], v[144:145], v[140:141] op_sel:[0,1] op_sel_hi:[1,0]
	v_pk_add_f32 v[116:117], v[116:117], v[140:141] op_sel:[0,1] op_sel_hi:[1,0] neg_lo:[0,1] neg_hi:[0,1]
	v_mov_b32_e32 v140, v134
	v_mov_b32_e32 v141, v117
	v_pk_fma_f32 v[140:141], v[142:143], s[8:9], v[140:141] op_sel_hi:[1,0,1]
	ds_write2_b64 v15, v[146:147], v[140:141] offset0:85 offset1:102
	v_pk_add_f32 v[140:141], v[110:111], v[128:129]
	v_pk_add_f32 v[110:111], v[114:115], v[110:111] neg_lo:[0,1] neg_hi:[0,1]
	v_pk_add_f32 v[114:115], v[118:119], v[128:129] neg_lo:[0,1] neg_hi:[0,1]
	v_pk_fma_f32 v[124:125], v[140:141], 0.5, v[124:125] op_sel_hi:[1,0,1] neg_lo:[1,0,0] neg_hi:[1,0,0]
	v_pk_add_f32 v[110:111], v[110:111], v[114:115]
	v_pk_mul_f32 v[114:115], v[138:139], s[10:11] op_sel_hi:[1,0]
	v_pk_mul_f32 v[118:119], v[122:123], s[14:15] op_sel_hi:[1,0]
	v_pk_add_f32 v[122:123], v[124:125], v[114:115] op_sel:[0,1] op_sel_hi:[1,0] neg_lo:[0,1] neg_hi:[0,1]
	v_pk_add_f32 v[114:115], v[124:125], v[114:115] op_sel:[0,1] op_sel_hi:[1,0]
	v_pk_add_f32 v[94:95], v[94:95], v[130:131]
	v_pk_add_f32 v[114:115], v[114:115], v[118:119] op_sel:[0,1] op_sel_hi:[1,0] neg_lo:[0,1] neg_hi:[0,1]
	v_pk_add_f32 v[118:119], v[122:123], v[118:119] op_sel:[0,1] op_sel_hi:[1,0]
	v_mov_b32_e32 v123, v115
	v_mov_b32_e32 v122, v118
	;; [unrolled: 1-line block ×3, first 2 shown]
	v_pk_add_f32 v[94:95], v[94:95], v[120:121]
	v_pk_fma_f32 v[122:123], v[110:111], s[8:9], v[122:123] op_sel_hi:[1,0,1]
	v_pk_fma_f32 v[110:111], v[110:111], s[8:9], v[114:115] op_sel_hi:[1,0,1]
	v_mov_b32_e32 v117, v135
	v_pk_add_f32 v[92:93], v[92:93], v[128:129]
	v_pk_add_f32 v[94:95], v[94:95], v[132:133]
	ds_write2_b64 v11, v[112:113], v[110:111] offset0:127 offset1:144
	v_pk_fma_f32 v[110:111], v[142:143], s[8:9], v[116:117] op_sel_hi:[1,0,1]
	v_add_u32_e32 v11, 0x800, v15
	ds_write2_b64 v15, v[126:127], v[122:123] offset0:170 offset1:187
	ds_write2_b64 v11, v[108:109], v[110:111] offset0:84 offset1:101
	;; [unrolled: 1-line block ×3, first 2 shown]
	v_pk_add_f32 v[92:93], v[130:131], v[120:121]
	v_pk_add_f32 v[94:95], v[136:137], v[132:133] neg_lo:[0,1] neg_hi:[0,1]
	v_pk_fma_f32 v[92:93], v[92:93], 0.5, v[104:105] op_sel_hi:[1,0,1] neg_lo:[1,0,0] neg_hi:[1,0,0]
	v_pk_mul_f32 v[108:109], v[94:95], s[10:11] op_sel_hi:[1,0]
	v_pk_add_f32 v[110:111], v[130:131], v[120:121] neg_lo:[0,1] neg_hi:[0,1]
	v_pk_add_f32 v[114:115], v[136:137], v[130:131] neg_lo:[0,1] neg_hi:[0,1]
	;; [unrolled: 1-line block ×3, first 2 shown]
	v_pk_mul_f32 v[112:113], v[110:111], s[14:15] op_sel_hi:[1,0]
	v_pk_add_f32 v[114:115], v[114:115], v[116:117]
	v_pk_add_f32 v[116:117], v[92:93], v[108:109] op_sel:[0,1] op_sel_hi:[1,0]
	v_pk_add_f32 v[92:93], v[92:93], v[108:109] op_sel:[0,1] op_sel_hi:[1,0] neg_lo:[0,1] neg_hi:[0,1]
	v_pk_add_f32 v[108:109], v[116:117], v[112:113] op_sel:[0,1] op_sel_hi:[1,0]
	v_pk_add_f32 v[92:93], v[92:93], v[112:113] op_sel:[0,1] op_sel_hi:[1,0] neg_lo:[0,1] neg_hi:[0,1]
	v_mov_b32_e32 v112, v108
	v_mov_b32_e32 v113, v93
	v_pk_fma_f32 v[112:113], v[114:115], s[8:9], v[112:113] op_sel_hi:[1,0,1]
	ds_write_b64 v210, v[112:113] offset:952
	v_pk_add_f32 v[112:113], v[136:137], v[132:133]
	v_pk_add_f32 v[116:117], v[120:121], v[132:133] neg_lo:[0,1] neg_hi:[0,1]
	v_pk_fma_f32 v[104:105], v[112:113], 0.5, v[104:105] op_sel_hi:[1,0,1] neg_lo:[1,0,0] neg_hi:[1,0,0]
	v_pk_add_f32 v[112:113], v[130:131], v[136:137] neg_lo:[0,1] neg_hi:[0,1]
	v_pk_mul_f32 v[110:111], v[110:111], s[10:11] op_sel_hi:[1,0]
	v_pk_add_f32 v[112:113], v[112:113], v[116:117]
	v_pk_mul_f32 v[94:95], v[94:95], s[14:15] op_sel_hi:[1,0]
	v_pk_add_f32 v[116:117], v[104:105], v[110:111] op_sel:[0,1] op_sel_hi:[1,0] neg_lo:[0,1] neg_hi:[0,1]
	v_pk_add_f32 v[104:105], v[104:105], v[110:111] op_sel:[0,1] op_sel_hi:[1,0]
	v_pk_add_f32 v[0:1], v[0:1], v[2:3]
	v_pk_add_f32 v[104:105], v[104:105], v[94:95] op_sel:[0,1] op_sel_hi:[1,0] neg_lo:[0,1] neg_hi:[0,1]
	v_pk_add_f32 v[94:95], v[116:117], v[94:95] op_sel:[0,1] op_sel_hi:[1,0]
	v_mov_b32_e32 v111, v105
	v_mov_b32_e32 v110, v94
	;; [unrolled: 1-line block ×4, first 2 shown]
	v_pk_add_f32 v[0:1], v[0:1], v[4:5]
	v_pk_fma_f32 v[110:111], v[112:113], s[8:9], v[110:111] op_sel_hi:[1,0,1]
	v_pk_fma_f32 v[94:95], v[112:113], s[8:9], v[104:105] op_sel_hi:[1,0,1]
	;; [unrolled: 1-line block ×3, first 2 shown]
	v_pk_add_f32 v[0:1], v[0:1], v[6:7]
	v_mov_b32_e32 v11, v13
	ds_write_b64 v210, v[110:111] offset:1632
	ds_write_b64 v210, v[94:95] offset:2312
	;; [unrolled: 1-line block ×4, first 2 shown]
	v_pk_fma_f32 v[0:1], v[8:9], s[8:9], v[10:11] op_sel_hi:[1,0,1]
	ds_write_b64 v210, v[0:1] offset:1088
	ds_write_b64 v210, v[88:89] offset:1768
	;; [unrolled: 1-line block ×4, first 2 shown]
	v_accvgpr_read_b32 v0, a2
	v_accvgpr_read_b32 v1, a3
	v_pk_fma_f32 v[34:35], v[102:103], s[8:9], v[96:97] op_sel_hi:[1,0,1]
	ds_write_b64 v15, v[32:33] offset:544
	ds_write_b64 v210, v[34:35] offset:1224
	ds_write_b64 v210, v[36:37] offset:1904
	ds_write_b64 v210, v[38:39] offset:2584
	ds_write_b64 v210, v[40:41] offset:3264
	s_waitcnt lgkmcnt(0)
	; wave barrier
	s_waitcnt lgkmcnt(0)
	global_load_dwordx2 v[6:7], v[0:1], off offset:3400
	s_add_u32 s8, s12, 0xd48
	s_addc_u32 s9, s13, 0
	v_lshlrev_b32_e32 v0, 3, v24
	global_load_dwordx2 v[10:11], v0, s[8:9] offset:200
	global_load_dwordx2 v[12:13], v0, s[8:9] offset:400
	global_load_dwordx2 v[92:93], v0, s[8:9] offset:600
	global_load_dwordx2 v[94:95], v0, s[8:9] offset:800
	global_load_dwordx2 v[104:105], v0, s[8:9] offset:1000
	global_load_dwordx2 v[106:107], v0, s[8:9] offset:1200
	global_load_dwordx2 v[108:109], v0, s[8:9] offset:1400
	global_load_dwordx2 v[110:111], v0, s[8:9] offset:1600
	global_load_dwordx2 v[112:113], v0, s[8:9] offset:1800
	global_load_dwordx2 v[114:115], v0, s[8:9] offset:2000
	global_load_dwordx2 v[116:117], v0, s[8:9] offset:2200
	global_load_dwordx2 v[118:119], v0, s[8:9] offset:2400
	global_load_dwordx2 v[120:121], v0, s[8:9] offset:2600
	global_load_dwordx2 v[122:123], v0, s[8:9] offset:2800
	global_load_dwordx2 v[124:125], v0, s[8:9] offset:3000
	global_load_dwordx2 v[128:129], v0, s[8:9] offset:3200
	ds_read2_b64 v[2:5], v210 offset1:25
	v_accvgpr_write_b32 a113, v55
	v_accvgpr_write_b32 a109, v51
	;; [unrolled: 1-line block ×24, first 2 shown]
	s_waitcnt vmcnt(16) lgkmcnt(0)
	v_mul_f32_e32 v1, v3, v7
	v_mul_f32_e32 v127, v2, v7
	v_fma_f32 v126, v2, v6, -v1
	v_fmac_f32_e32 v127, v3, v6
	ds_read2_b64 v[6:9], v210 offset0:50 offset1:75
	s_waitcnt vmcnt(15)
	v_mul_f32_e32 v1, v5, v11
	v_mul_f32_e32 v3, v4, v11
	v_fma_f32 v2, v4, v10, -v1
	v_fmac_f32_e32 v3, v5, v10
	ds_write2_b64 v210, v[126:127], v[2:3] offset1:25
	ds_read2_b64 v[2:5], v210 offset0:100 offset1:125
	s_waitcnt vmcnt(14) lgkmcnt(2)
	v_mul_f32_e32 v1, v7, v13
	v_mul_f32_e32 v11, v6, v13
	v_fma_f32 v10, v6, v12, -v1
	v_fmac_f32_e32 v11, v7, v12
	s_waitcnt vmcnt(13)
	v_mul_f32_e32 v1, v9, v93
	v_mul_f32_e32 v7, v8, v93
	v_fma_f32 v6, v8, v92, -v1
	v_fmac_f32_e32 v7, v9, v92
	ds_write2_b64 v210, v[10:11], v[6:7] offset0:50 offset1:75
	s_waitcnt vmcnt(12) lgkmcnt(1)
	v_mul_f32_e32 v1, v3, v95
	v_mul_f32_e32 v11, v2, v95
	v_fma_f32 v10, v2, v94, -v1
	v_fmac_f32_e32 v11, v3, v94
	s_waitcnt vmcnt(11)
	v_mul_f32_e32 v1, v5, v105
	ds_read2_b64 v[6:9], v210 offset0:150 offset1:175
	v_mul_f32_e32 v3, v4, v105
	v_fma_f32 v2, v4, v104, -v1
	v_fmac_f32_e32 v3, v5, v104
	ds_write2_b64 v210, v[10:11], v[2:3] offset0:100 offset1:125
	ds_read2_b64 v[2:5], v210 offset0:200 offset1:225
	s_waitcnt vmcnt(10) lgkmcnt(2)
	v_mul_f32_e32 v1, v7, v107
	v_mul_f32_e32 v11, v6, v107
	v_fma_f32 v10, v6, v106, -v1
	v_fmac_f32_e32 v11, v7, v106
	s_waitcnt vmcnt(9)
	v_mul_f32_e32 v1, v9, v109
	v_mul_f32_e32 v7, v8, v109
	v_fma_f32 v6, v8, v108, -v1
	v_fmac_f32_e32 v7, v9, v108
	s_waitcnt vmcnt(8) lgkmcnt(0)
	v_mul_f32_e32 v1, v3, v111
	ds_write2_b64 v210, v[10:11], v[6:7] offset0:150 offset1:175
	v_fma_f32 v10, v2, v110, -v1
	v_mul_f32_e32 v11, v2, v111
	v_add_u32_e32 v2, 0x400, v210
	ds_read2_b64 v[6:9], v2 offset0:122 offset1:147
	s_waitcnt vmcnt(7)
	v_mul_f32_e32 v1, v5, v113
	v_mul_f32_e32 v13, v4, v113
	v_fmac_f32_e32 v11, v3, v110
	v_fma_f32 v12, v4, v112, -v1
	v_fmac_f32_e32 v13, v5, v112
	ds_write2_b64 v210, v[10:11], v[12:13] offset0:200 offset1:225
	s_waitcnt vmcnt(6) lgkmcnt(1)
	v_mul_f32_e32 v1, v7, v115
	v_mul_f32_e32 v11, v6, v115
	v_fma_f32 v10, v6, v114, -v1
	v_fmac_f32_e32 v11, v7, v114
	ds_read2_b64 v[4:7], v14 offset0:44 offset1:69
	s_waitcnt vmcnt(5)
	v_mul_f32_e32 v1, v9, v117
	v_mul_f32_e32 v13, v8, v117
	v_fma_f32 v12, v8, v116, -v1
	v_fmac_f32_e32 v13, v9, v116
	ds_write2_b64 v2, v[10:11], v[12:13] offset0:122 offset1:147
	ds_read2_b64 v[8:11], v14 offset0:94 offset1:119
	s_waitcnt vmcnt(4) lgkmcnt(2)
	v_mul_f32_e32 v1, v5, v119
	v_mul_f32_e32 v13, v4, v119
	v_fma_f32 v12, v4, v118, -v1
	v_fmac_f32_e32 v13, v5, v118
	s_waitcnt vmcnt(3)
	v_mul_f32_e32 v1, v7, v121
	v_mul_f32_e32 v5, v6, v121
	v_fma_f32 v4, v6, v120, -v1
	v_fmac_f32_e32 v5, v7, v120
	ds_read_b64 v[6:7], v210 offset:3200
	ds_write2_b64 v14, v[12:13], v[4:5] offset0:44 offset1:69
	s_waitcnt vmcnt(2) lgkmcnt(2)
	v_mul_f32_e32 v1, v9, v123
	v_mul_f32_e32 v5, v8, v123
	v_fma_f32 v4, v8, v122, -v1
	v_fmac_f32_e32 v5, v9, v122
	s_waitcnt vmcnt(1)
	v_mul_f32_e32 v1, v11, v125
	v_mul_f32_e32 v9, v10, v125
	v_fma_f32 v8, v10, v124, -v1
	v_fmac_f32_e32 v9, v11, v124
	ds_write2_b64 v14, v[4:5], v[8:9] offset0:94 offset1:119
	s_waitcnt vmcnt(0) lgkmcnt(2)
	v_mul_f32_e32 v1, v7, v129
	v_mul_f32_e32 v5, v6, v129
	v_fma_f32 v4, v6, v128, -v1
	v_fmac_f32_e32 v5, v7, v128
	ds_write_b64 v210, v[4:5] offset:3200
	s_and_saveexec_b64 s[0:1], vcc
	s_cbranch_execz .LBB0_9
; %bb.8:
	v_mov_b32_e32 v1, 0
	v_lshl_add_u64 v[0:1], s[8:9], 0, v[0:1]
	global_load_dwordx2 v[4:5], v[0:1], off offset:136
	global_load_dwordx2 v[12:13], v[0:1], off offset:336
	;; [unrolled: 1-line block ×15, first 2 shown]
	v_accvgpr_read_b32 v10, a1
	ds_read_b64 v[6:7], v10 offset:136
	global_load_dwordx2 v[150:151], v[0:1], off offset:3136
	s_nop 0
	global_load_dwordx2 v[0:1], v[0:1], off offset:3336
	s_waitcnt vmcnt(16) lgkmcnt(0)
	v_mul_f32_e32 v3, v7, v5
	v_mul_f32_e32 v9, v6, v5
	v_fma_f32 v8, v6, v4, -v3
	v_fmac_f32_e32 v9, v7, v4
	ds_write_b64 v10, v[8:9] offset:136
	ds_read2_b64 v[4:7], v210 offset0:42 offset1:67
	ds_read2_b64 v[8:11], v210 offset0:92 offset1:117
	;; [unrolled: 1-line block ×8, first 2 shown]
	s_waitcnt vmcnt(15) lgkmcnt(7)
	v_mul_f32_e32 v155, v4, v13
	v_mul_f32_e32 v3, v5, v13
	s_waitcnt vmcnt(14)
	v_mul_f32_e32 v15, v7, v125
	v_mul_f32_e32 v13, v6, v125
	s_waitcnt vmcnt(13) lgkmcnt(6)
	v_mul_f32_e32 v24, v9, v127
	v_mul_f32_e32 v125, v8, v127
	s_waitcnt vmcnt(12)
	v_mul_f32_e32 v25, v11, v129
	v_mul_f32_e32 v127, v10, v129
	;; [unrolled: 6-line block ×6, first 2 shown]
	s_waitcnt vmcnt(3) lgkmcnt(1)
	v_mul_f32_e32 v34, v117, v147
	v_mul_f32_e32 v145, v116, v147
	s_waitcnt vmcnt(2)
	v_mul_f32_e32 v35, v119, v149
	v_fmac_f32_e32 v155, v5, v12
	v_mul_f32_e32 v5, v118, v149
	v_fma_f32 v154, v4, v12, -v3
	v_fma_f32 v12, v6, v124, -v15
	v_fmac_f32_e32 v13, v7, v124
	v_fma_f32 v124, v8, v126, -v24
	v_fmac_f32_e32 v125, v9, v126
	;; [unrolled: 2-line block ×13, first 2 shown]
	s_waitcnt vmcnt(1) lgkmcnt(0)
	v_mul_f32_e32 v3, v121, v151
	ds_write2_b64 v210, v[154:155], v[12:13] offset0:42 offset1:67
	ds_write2_b64 v210, v[124:125], v[126:127] offset0:92 offset1:117
	;; [unrolled: 1-line block ×7, first 2 shown]
	v_fma_f32 v4, v120, v150, -v3
	v_mul_f32_e32 v5, v120, v151
	s_waitcnt vmcnt(0)
	v_mul_f32_e32 v3, v123, v1
	v_mul_f32_e32 v7, v122, v1
	v_fmac_f32_e32 v5, v121, v150
	v_fma_f32 v6, v122, v0, -v3
	v_fmac_f32_e32 v7, v123, v0
	ds_write2_b64 v14, v[4:5], v[6:7] offset0:136 offset1:161
.LBB0_9:
	s_or_b64 exec, exec, s[0:1]
	s_waitcnt lgkmcnt(0)
	; wave barrier
	s_waitcnt lgkmcnt(0)
	ds_read2_b64 v[104:107], v210 offset1:25
	ds_read2_b64 v[128:131], v210 offset0:50 offset1:75
	ds_read2_b64 v[120:123], v210 offset0:100 offset1:125
	;; [unrolled: 1-line block ×7, first 2 shown]
	ds_read_b64 v[0:1], v210 offset:3200
	v_accvgpr_write_b32 a78, v156
	v_accvgpr_write_b32 a79, v157
	;; [unrolled: 1-line block ×4, first 2 shown]
	s_and_saveexec_b64 s[0:1], vcc
	s_cbranch_execz .LBB0_11
; %bb.10:
	v_accvgpr_read_b32 v3, a1
	ds_read2_b64 v[88:91], v3 offset0:17 offset1:42
	ds_read2_b64 a[116:119], v3 offset0:67 offset1:92
	;; [unrolled: 1-line block ×5, first 2 shown]
	v_add_u32_e32 v2, 0x800, v3
	ds_read2_b64 a[50:53], v2 offset0:11 offset1:36
	ds_read2_b64 a[46:49], v2 offset0:61 offset1:86
	ds_read2_b64 a[42:45], v2 offset0:111 offset1:136
	ds_read_b64 a[40:41], v3 offset:3336
.LBB0_11:
	s_or_b64 exec, exec, s[0:1]
	s_waitcnt lgkmcnt(8)
	v_pk_add_f32 v[2:3], v[104:105], v[106:107]
	s_waitcnt lgkmcnt(0)
	v_pk_add_f32 v[188:189], v[0:1], v[106:107]
	v_pk_add_f32 v[2:3], v[2:3], v[128:129]
	v_pk_add_f32 v[106:107], v[106:107], v[0:1] neg_lo:[0,1] neg_hi:[0,1]
	v_pk_add_f32 v[2:3], v[2:3], v[130:131]
	s_mov_b32 s20, 0xbeb8f4ab
	v_pk_add_f32 v[2:3], v[2:3], v[120:121]
	s_mov_b32 s12, 0x3f6eb680
	v_pk_add_f32 v[2:3], v[2:3], v[122:123]
	v_pk_add_f32 v[190:191], v[134:135], v[128:129]
	;; [unrolled: 1-line block ×3, first 2 shown]
	v_pk_add_f32 v[128:129], v[128:129], v[134:135] neg_lo:[0,1] neg_hi:[0,1]
	v_pk_add_f32 v[2:3], v[2:3], v[114:115]
	s_mov_b32 s36, 0xbf2c7751
	v_pk_add_f32 v[2:3], v[2:3], v[108:109]
	s_mov_b32 s0, 0x3f3d2fb0
	v_pk_add_f32 v[2:3], v[2:3], v[110:111]
	v_pk_add_f32 v[136:137], v[130:131], v[132:133] neg_lo:[0,1] neg_hi:[0,1]
	v_pk_add_f32 v[2:3], v[2:3], v[116:117]
	s_mov_b32 s44, 0xbf65296c
	v_pk_add_f32 v[2:3], v[2:3], v[118:119]
	v_pk_add_f32 v[192:193], v[132:133], v[130:131]
	;; [unrolled: 1-line block ×3, first 2 shown]
	s_mov_b32 s8, 0x3ee437d1
	v_pk_add_f32 v[2:3], v[2:3], v[126:127]
	v_pk_add_f32 v[194:195], v[126:127], v[120:121]
	;; [unrolled: 1-line block ×3, first 2 shown]
	v_pk_add_f32 v[126:127], v[120:121], v[126:127] neg_lo:[0,1] neg_hi:[0,1]
	v_pk_add_f32 v[2:3], v[2:3], v[134:135]
	s_mov_b32 s28, 0xbf7ee86f
	v_pk_add_f32 v[2:3], v[2:3], v[0:1]
	v_pk_mul_f32 v[0:1], v[106:107], s[20:21] op_sel_hi:[1,0]
	s_mov_b32 s10, 0x3dbcf732
	v_pk_fma_f32 v[4:5], v[188:189], s[12:13], v[0:1] op_sel:[0,0,1] op_sel_hi:[1,0,0]
	v_pk_fma_f32 v[222:223], v[188:189], s[12:13], v[0:1] op_sel:[0,0,1] op_sel_hi:[1,0,0] neg_lo:[0,0,1] neg_hi:[0,0,1]
	v_mov_b32_e32 v0, v4
	v_accvgpr_write_b32 a61, v5
	v_pk_mul_f32 v[4:5], v[128:129], s[36:37] op_sel_hi:[1,0]
	v_mov_b32_e32 v1, v223
	v_pk_fma_f32 v[6:7], v[190:191], s[0:1], v[4:5] op_sel:[0,0,1] op_sel_hi:[1,0,0]
	v_pk_fma_f32 v[226:227], v[190:191], s[0:1], v[4:5] op_sel:[0,0,1] op_sel_hi:[1,0,0] neg_lo:[0,0,1] neg_hi:[0,0,1]
	v_pk_add_f32 v[0:1], v[104:105], v[0:1]
	v_mov_b32_e32 v4, v6
	v_mov_b32_e32 v5, v227
	v_pk_add_f32 v[0:1], v[4:5], v[0:1]
	v_pk_mul_f32 v[4:5], v[136:137], s[44:45] op_sel_hi:[1,0]
	v_accvgpr_write_b32 a115, v7
	v_pk_fma_f32 v[6:7], v[192:193], s[8:9], v[4:5] op_sel:[0,0,1] op_sel_hi:[1,0,0]
	v_pk_fma_f32 v[230:231], v[192:193], s[8:9], v[4:5] op_sel:[0,0,1] op_sel_hi:[1,0,0] neg_lo:[0,0,1] neg_hi:[0,0,1]
	v_mov_b32_e32 v4, v6
	v_mov_b32_e32 v5, v231
	v_pk_add_f32 v[0:1], v[4:5], v[0:1]
	v_pk_mul_f32 v[4:5], v[126:127], s[28:29] op_sel_hi:[1,0]
	v_accvgpr_write_b32 a135, v7
	v_pk_fma_f32 v[6:7], v[194:195], s[10:11], v[4:5] op_sel:[0,0,1] op_sel_hi:[1,0,0]
	v_pk_fma_f32 v[234:235], v[194:195], s[10:11], v[4:5] op_sel:[0,0,1] op_sel_hi:[1,0,0] neg_lo:[0,0,1] neg_hi:[0,0,1]
	v_mov_b32_e32 v4, v6
	v_mov_b32_e32 v5, v235
	v_pk_add_f32 v[166:167], v[124:125], v[122:123]
	v_pk_add_f32 v[122:123], v[122:123], v[124:125] neg_lo:[0,1] neg_hi:[0,1]
	s_mov_b32 s16, 0xbf763a35
	v_pk_add_f32 v[0:1], v[4:5], v[0:1]
	s_mov_b32 s14, 0xbe8c1d8e
	v_pk_mul_f32 v[4:5], v[122:123], s[16:17] op_sel_hi:[1,0]
	v_accvgpr_write_b32 a137, v7
	v_pk_fma_f32 v[6:7], v[166:167], s[14:15], v[4:5] op_sel:[0,0,1] op_sel_hi:[1,0,0]
	v_pk_fma_f32 v[238:239], v[166:167], s[14:15], v[4:5] op_sel:[0,0,1] op_sel_hi:[1,0,0] neg_lo:[0,0,1] neg_hi:[0,0,1]
	v_mov_b32_e32 v4, v6
	v_mov_b32_e32 v5, v239
	v_pk_add_f32 v[8:9], v[112:113], v[118:119] neg_lo:[0,1] neg_hi:[0,1]
	s_mov_b32 s22, 0xbf4c4adb
	v_pk_add_f32 v[0:1], v[4:5], v[0:1]
	v_pk_add_f32 v[12:13], v[118:119], v[112:113]
	s_mov_b32 s18, 0xbf1a4643
	v_pk_mul_f32 v[4:5], v[8:9], s[22:23] op_sel_hi:[1,0]
	v_accvgpr_write_b32 a139, v7
	v_pk_fma_f32 v[6:7], v[12:13], s[18:19], v[4:5] op_sel:[0,0,1] op_sel_hi:[1,0,0]
	v_pk_fma_f32 v[242:243], v[12:13], s[18:19], v[4:5] op_sel:[0,0,1] op_sel_hi:[1,0,0] neg_lo:[0,0,1] neg_hi:[0,0,1]
	v_mov_b32_e32 v4, v6
	v_mov_b32_e32 v5, v243
	v_pk_add_f32 v[196:197], v[114:115], v[116:117] neg_lo:[0,1] neg_hi:[0,1]
	s_mov_b32 s26, 0xbf06c442
	v_pk_add_f32 v[0:1], v[4:5], v[0:1]
	;; [unrolled: 11-line block ×3, first 2 shown]
	v_pk_add_f32 v[198:199], v[110:111], v[108:109]
	s_mov_b32 s30, 0xbf7ba420
	v_pk_mul_f32 v[4:5], v[200:201], s[34:35] op_sel_hi:[1,0]
	v_accvgpr_write_b32 a143, v7
	v_pk_fma_f32 v[6:7], v[198:199], s[30:31], v[4:5] op_sel:[0,0,1] op_sel_hi:[1,0,0]
	v_pk_fma_f32 v[250:251], v[198:199], s[30:31], v[4:5] op_sel:[0,0,1] op_sel_hi:[1,0,0] neg_lo:[0,0,1] neg_hi:[0,0,1]
	v_mov_b32_e32 v4, v6
	v_mov_b32_e32 v5, v251
	v_pk_add_f32 v[0:1], v[4:5], v[0:1]
	s_waitcnt lgkmcnt(0)
	; wave barrier
	ds_write2_b64 v211, v[2:3], v[0:1] offset1:1
	v_pk_mul_f32 v[0:1], v[106:107], s[36:37] op_sel_hi:[1,0]
	s_mov_b32 s50, 0x3f06c442
	v_pk_fma_f32 v[2:3], v[188:189], s[0:1], v[0:1] op_sel:[0,0,1] op_sel_hi:[1,0,0]
	v_pk_fma_f32 v[254:255], v[188:189], s[0:1], v[0:1] op_sel:[0,0,1] op_sel_hi:[1,0,0] neg_lo:[0,0,1] neg_hi:[0,0,1]
	v_mov_b32_e32 v0, v2
	v_mov_b32_e32 v223, v3
	v_pk_mul_f32 v[2:3], v[128:129], s[28:29] op_sel_hi:[1,0]
	v_mov_b32_e32 v1, v255
	v_pk_fma_f32 v[4:5], v[190:191], s[10:11], v[2:3] op_sel:[0,0,1] op_sel_hi:[1,0,0]
	v_pk_fma_f32 v[176:177], v[190:191], s[10:11], v[2:3] op_sel:[0,0,1] op_sel_hi:[1,0,0] neg_lo:[0,0,1] neg_hi:[0,0,1]
	v_pk_add_f32 v[0:1], v[104:105], v[0:1]
	v_mov_b32_e32 v2, v4
	v_mov_b32_e32 v3, v177
	v_pk_add_f32 v[0:1], v[2:3], v[0:1]
	v_pk_mul_f32 v[2:3], v[136:137], s[22:23] op_sel_hi:[1,0]
	v_mov_b32_e32 v227, v5
	v_pk_fma_f32 v[4:5], v[192:193], s[18:19], v[2:3] op_sel:[0,0,1] op_sel_hi:[1,0,0]
	v_pk_fma_f32 v[142:143], v[192:193], s[18:19], v[2:3] op_sel:[0,0,1] op_sel_hi:[1,0,0] neg_lo:[0,0,1] neg_hi:[0,0,1]
	v_mov_b32_e32 v2, v4
	v_mov_b32_e32 v3, v143
	v_pk_add_f32 v[0:1], v[2:3], v[0:1]
	v_pk_mul_f32 v[2:3], v[126:127], s[34:35] op_sel_hi:[1,0]
	v_mov_b32_e32 v231, v5
	v_pk_fma_f32 v[4:5], v[194:195], s[30:31], v[2:3] op_sel:[0,0,1] op_sel_hi:[1,0,0]
	v_pk_fma_f32 v[146:147], v[194:195], s[30:31], v[2:3] op_sel:[0,0,1] op_sel_hi:[1,0,0] neg_lo:[0,0,1] neg_hi:[0,0,1]
	;; [unrolled: 7-line block ×3, first 2 shown]
	v_mov_b32_e32 v2, v4
	v_mov_b32_e32 v3, v151
	s_mov_b32 s46, 0x3f763a35
	v_pk_add_f32 v[0:1], v[2:3], v[0:1]
	v_pk_mul_f32 v[2:3], v[8:9], s[46:47] op_sel_hi:[1,0]
	v_mov_b32_e32 v239, v5
	v_pk_fma_f32 v[4:5], v[12:13], s[14:15], v[2:3] op_sel:[0,0,1] op_sel_hi:[1,0,0]
	v_pk_fma_f32 v[154:155], v[12:13], s[14:15], v[2:3] op_sel:[0,0,1] op_sel_hi:[1,0,0] neg_lo:[0,0,1] neg_hi:[0,0,1]
	v_mov_b32_e32 v2, v4
	v_mov_b32_e32 v3, v155
	s_mov_b32 s38, 0x3f65296c
	v_pk_add_f32 v[0:1], v[2:3], v[0:1]
	v_pk_mul_f32 v[2:3], v[196:197], s[38:39] op_sel_hi:[1,0]
	v_mov_b32_e32 v243, v5
	v_pk_fma_f32 v[4:5], v[124:125], s[8:9], v[2:3] op_sel:[0,0,1] op_sel_hi:[1,0,0]
	v_pk_fma_f32 v[158:159], v[124:125], s[8:9], v[2:3] op_sel:[0,0,1] op_sel_hi:[1,0,0] neg_lo:[0,0,1] neg_hi:[0,0,1]
	;; [unrolled: 8-line block ×3, first 2 shown]
	v_mov_b32_e32 v2, v4
	v_mov_b32_e32 v3, v163
	v_pk_add_f32 v[0:1], v[2:3], v[0:1]
	v_pk_mul_f32 v[2:3], v[106:107], s[44:45] op_sel_hi:[1,0]
	v_mov_b32_e32 v251, v5
	v_pk_fma_f32 v[4:5], v[188:189], s[8:9], v[2:3] op_sel:[0,0,1] op_sel_hi:[1,0,0]
	v_pk_fma_f32 v[172:173], v[188:189], s[8:9], v[2:3] op_sel:[0,0,1] op_sel_hi:[1,0,0] neg_lo:[0,0,1] neg_hi:[0,0,1]
	v_mov_b32_e32 v2, v4
	v_mov_b32_e32 v143, v5
	v_pk_mul_f32 v[4:5], v[128:129], s[22:23] op_sel_hi:[1,0]
	v_mov_b32_e32 v3, v173
	v_pk_fma_f32 v[252:253], v[190:191], s[18:19], v[4:5] op_sel:[0,0,1] op_sel_hi:[1,0,0]
	v_pk_fma_f32 v[168:169], v[190:191], s[18:19], v[4:5] op_sel:[0,0,1] op_sel_hi:[1,0,0] neg_lo:[0,0,1] neg_hi:[0,0,1]
	v_pk_add_f32 v[2:3], v[104:105], v[2:3]
	v_mov_b32_e32 v4, v252
	v_mov_b32_e32 v5, v169
	s_mov_b32 s54, 0x3e3c28d5
	v_pk_add_f32 v[2:3], v[4:5], v[2:3]
	v_pk_mul_f32 v[4:5], v[136:137], s[54:55] op_sel_hi:[1,0]
	s_mov_b32 s42, 0x3f2c7751
	v_pk_fma_f32 v[244:245], v[192:193], s[30:31], v[4:5] op_sel:[0,0,1] op_sel_hi:[1,0,0]
	v_pk_fma_f32 v[174:175], v[192:193], s[30:31], v[4:5] op_sel:[0,0,1] op_sel_hi:[1,0,0] neg_lo:[0,0,1] neg_hi:[0,0,1]
	v_mov_b32_e32 v4, v244
	v_mov_b32_e32 v5, v175
	v_pk_add_f32 v[2:3], v[4:5], v[2:3]
	v_pk_mul_f32 v[4:5], v[126:127], s[46:47] op_sel_hi:[1,0]
	v_accvgpr_write_b32 a145, v7
	v_pk_fma_f32 v[236:237], v[194:195], s[14:15], v[4:5] op_sel:[0,0,1] op_sel_hi:[1,0,0]
	v_pk_fma_f32 v[14:15], v[194:195], s[14:15], v[4:5] op_sel:[0,0,1] op_sel_hi:[1,0,0] neg_lo:[0,0,1] neg_hi:[0,0,1]
	v_mov_b32_e32 v4, v236
	v_mov_b32_e32 v5, v15
	v_pk_add_f32 v[4:5], v[4:5], v[2:3]
	v_pk_mul_f32 v[2:3], v[122:123], s[42:43] op_sel_hi:[1,0]
	s_mov_b32 s52, 0x3f4c4adb
	v_pk_fma_f32 v[228:229], v[166:167], s[0:1], v[2:3] op_sel:[0,0,1] op_sel_hi:[1,0,0]
	v_pk_fma_f32 v[2:3], v[166:167], s[0:1], v[2:3] op_sel:[0,0,1] op_sel_hi:[1,0,0] neg_lo:[0,0,1] neg_hi:[0,0,1]
	v_mov_b32_e32 v6, v228
	v_mov_b32_e32 v7, v3
	v_pk_add_f32 v[4:5], v[6:7], v[4:5]
	v_pk_mul_f32 v[6:7], v[8:9], s[20:21] op_sel_hi:[1,0]
	v_pk_mul_f32 v[110:111], v[136:137], s[42:43] op_sel_hi:[1,0]
	v_pk_fma_f32 v[160:161], v[12:13], s[12:13], v[6:7] op_sel:[0,0,1] op_sel_hi:[1,0,0]
	v_pk_fma_f32 v[6:7], v[12:13], s[12:13], v[6:7] op_sel:[0,0,1] op_sel_hi:[1,0,0] neg_lo:[0,0,1] neg_hi:[0,0,1]
	v_mov_b32_e32 v10, v160
	v_mov_b32_e32 v11, v7
	v_pk_add_f32 v[4:5], v[10:11], v[4:5]
	v_pk_mul_f32 v[10:11], v[196:197], s[28:29] op_sel_hi:[1,0]
	v_pk_fma_f32 v[206:207], v[192:193], s[0:1], v[110:111] op_sel:[0,0,1] op_sel_hi:[1,0,0] neg_lo:[0,0,1] neg_hi:[0,0,1]
	v_pk_fma_f32 v[170:171], v[124:125], s[10:11], v[10:11] op_sel:[0,0,1] op_sel_hi:[1,0,0]
	v_pk_fma_f32 v[10:11], v[124:125], s[10:11], v[10:11] op_sel:[0,0,1] op_sel_hi:[1,0,0] neg_lo:[0,0,1] neg_hi:[0,0,1]
	v_mov_b32_e32 v92, v170
	v_mov_b32_e32 v93, v11
	v_pk_add_f32 v[4:5], v[92:93], v[4:5]
	v_pk_mul_f32 v[92:93], v[200:201], s[26:27] op_sel_hi:[1,0]
	s_mov_b32 s48, 0x3f7ee86f
	v_pk_fma_f32 v[164:165], v[198:199], s[24:25], v[92:93] op_sel:[0,0,1] op_sel_hi:[1,0,0]
	v_pk_fma_f32 v[220:221], v[198:199], s[24:25], v[92:93] op_sel:[0,0,1] op_sel_hi:[1,0,0] neg_lo:[0,0,1] neg_hi:[0,0,1]
	v_mov_b32_e32 v92, v164
	v_mov_b32_e32 v93, v221
	v_pk_add_f32 v[4:5], v[92:93], v[4:5]
	ds_write2_b64 v211, v[0:1], v[4:5] offset0:2 offset1:3
	v_pk_mul_f32 v[0:1], v[106:107], s[28:29] op_sel_hi:[1,0]
	v_pk_mul_f32 v[4:5], v[128:129], s[34:35] op_sel_hi:[1,0]
	v_pk_fma_f32 v[120:121], v[188:189], s[10:11], v[0:1] op_sel:[0,0,1] op_sel_hi:[1,0,0]
	v_pk_fma_f32 v[130:131], v[188:189], s[10:11], v[0:1] op_sel:[0,0,1] op_sel_hi:[1,0,0] neg_lo:[0,0,1] neg_hi:[0,0,1]
	v_mov_b32_e32 v0, v120
	v_mov_b32_e32 v1, v131
	v_pk_fma_f32 v[132:133], v[190:191], s[30:31], v[4:5] op_sel:[0,0,1] op_sel_hi:[1,0,0]
	v_pk_fma_f32 v[248:249], v[190:191], s[30:31], v[4:5] op_sel:[0,0,1] op_sel_hi:[1,0,0] neg_lo:[0,0,1] neg_hi:[0,0,1]
	v_pk_add_f32 v[0:1], v[104:105], v[0:1]
	v_mov_b32_e32 v4, v132
	v_mov_b32_e32 v5, v249
	v_pk_add_f32 v[0:1], v[4:5], v[0:1]
	v_pk_mul_f32 v[4:5], v[136:137], s[46:47] op_sel_hi:[1,0]
	v_pk_mul_f32 v[92:93], v[128:129], s[50:51] op_sel_hi:[1,0]
	v_pk_fma_f32 v[140:141], v[192:193], s[14:15], v[4:5] op_sel:[0,0,1] op_sel_hi:[1,0,0]
	v_pk_fma_f32 v[134:135], v[192:193], s[14:15], v[4:5] op_sel:[0,0,1] op_sel_hi:[1,0,0] neg_lo:[0,0,1] neg_hi:[0,0,1]
	v_mov_b32_e32 v4, v140
	v_mov_b32_e32 v5, v135
	v_pk_add_f32 v[0:1], v[4:5], v[0:1]
	v_pk_mul_f32 v[4:5], v[126:127], s[40:41] op_sel_hi:[1,0]
	v_pk_mul_f32 v[114:115], v[196:197], s[20:21] op_sel_hi:[1,0]
	v_pk_fma_f32 v[144:145], v[194:195], s[12:13], v[4:5] op_sel:[0,0,1] op_sel_hi:[1,0,0]
	v_pk_fma_f32 v[178:179], v[194:195], s[12:13], v[4:5] op_sel:[0,0,1] op_sel_hi:[1,0,0] neg_lo:[0,0,1] neg_hi:[0,0,1]
	v_mov_b32_e32 v4, v144
	v_mov_b32_e32 v5, v179
	v_pk_add_f32 v[0:1], v[4:5], v[0:1]
	v_pk_mul_f32 v[4:5], v[122:123], s[44:45] op_sel_hi:[1,0]
	v_pk_fma_f32 v[116:117], v[124:125], s[12:13], v[114:115] op_sel:[0,0,1] op_sel_hi:[1,0,0] neg_lo:[0,0,1] neg_hi:[0,0,1]
	v_pk_fma_f32 v[148:149], v[166:167], s[8:9], v[4:5] op_sel:[0,0,1] op_sel_hi:[1,0,0]
	v_pk_fma_f32 v[184:185], v[166:167], s[8:9], v[4:5] op_sel:[0,0,1] op_sel_hi:[1,0,0] neg_lo:[0,0,1] neg_hi:[0,0,1]
	v_mov_b32_e32 v4, v148
	v_mov_b32_e32 v5, v185
	v_pk_add_f32 v[0:1], v[4:5], v[0:1]
	v_pk_mul_f32 v[4:5], v[8:9], s[26:27] op_sel_hi:[1,0]
	v_pk_mul_f32 v[180:181], v[128:129], s[46:47] op_sel_hi:[1,0]
	v_pk_fma_f32 v[186:187], v[12:13], s[24:25], v[4:5] op_sel:[0,0,1] op_sel_hi:[1,0,0]
	v_pk_fma_f32 v[204:205], v[12:13], s[24:25], v[4:5] op_sel:[0,0,1] op_sel_hi:[1,0,0] neg_lo:[0,0,1] neg_hi:[0,0,1]
	v_mov_b32_e32 v4, v186
	v_mov_b32_e32 v5, v205
	v_pk_add_f32 v[0:1], v[4:5], v[0:1]
	v_pk_mul_f32 v[4:5], v[196:197], s[52:53] op_sel_hi:[1,0]
	v_pk_fma_f32 v[96:97], v[190:191], s[14:15], v[180:181] op_sel:[0,0,1] op_sel_hi:[1,0,0]
	v_pk_fma_f32 v[156:157], v[124:125], s[18:19], v[4:5] op_sel:[0,0,1] op_sel_hi:[1,0,0]
	v_pk_fma_f32 v[214:215], v[124:125], s[18:19], v[4:5] op_sel:[0,0,1] op_sel_hi:[1,0,0] neg_lo:[0,0,1] neg_hi:[0,0,1]
	v_mov_b32_e32 v4, v156
	v_mov_b32_e32 v5, v215
	v_pk_add_f32 v[0:1], v[4:5], v[0:1]
	v_pk_mul_f32 v[4:5], v[200:201], s[42:43] op_sel_hi:[1,0]
	v_pk_fma_f32 v[180:181], v[190:191], s[14:15], v[180:181] op_sel:[0,0,1] op_sel_hi:[1,0,0] neg_lo:[0,0,1] neg_hi:[0,0,1]
	v_pk_fma_f32 v[218:219], v[198:199], s[0:1], v[4:5] op_sel:[0,0,1] op_sel_hi:[1,0,0]
	v_pk_fma_f32 v[232:233], v[198:199], s[0:1], v[4:5] op_sel:[0,0,1] op_sel_hi:[1,0,0] neg_lo:[0,0,1] neg_hi:[0,0,1]
	v_mov_b32_e32 v4, v218
	v_mov_b32_e32 v5, v233
	v_pk_add_f32 v[224:225], v[4:5], v[0:1]
	v_pk_mul_f32 v[0:1], v[106:107], s[16:17] op_sel_hi:[1,0]
	v_mov_b32_e32 v182, v96
	v_pk_fma_f32 v[138:139], v[188:189], s[14:15], v[0:1] op_sel:[0,0,1] op_sel_hi:[1,0,0]
	v_pk_fma_f32 v[0:1], v[188:189], s[14:15], v[0:1] op_sel:[0,0,1] op_sel_hi:[1,0,0] neg_lo:[0,0,1] neg_hi:[0,0,1]
	v_mov_b32_e32 v4, v138
	v_mov_b32_e32 v5, v1
	v_pk_add_f32 v[94:95], v[104:105], v[4:5]
	v_pk_fma_f32 v[4:5], v[190:191], s[24:25], v[92:93] op_sel:[0,0,1] op_sel_hi:[1,0,0]
	v_pk_fma_f32 v[92:93], v[190:191], s[24:25], v[92:93] op_sel:[0,0,1] op_sel_hi:[1,0,0] neg_lo:[0,0,1] neg_hi:[0,0,1]
	v_mov_b32_e32 v108, v4
	v_mov_b32_e32 v109, v93
	v_pk_add_f32 v[108:109], v[108:109], v[94:95]
	v_pk_fma_f32 v[94:95], v[192:193], s[0:1], v[110:111] op_sel:[0,0,1] op_sel_hi:[1,0,0]
	v_mov_b32_e32 v111, v207
	v_mov_b32_e32 v110, v94
	v_pk_add_f32 v[108:109], v[110:111], v[108:109]
	v_pk_mul_f32 v[110:111], v[126:127], s[44:45] op_sel_hi:[1,0]
	v_mov_b32_e32 v183, v181
	v_pk_fma_f32 v[202:203], v[194:195], s[8:9], v[110:111] op_sel:[0,0,1] op_sel_hi:[1,0,0]
	v_pk_fma_f32 v[208:209], v[194:195], s[8:9], v[110:111] op_sel:[0,0,1] op_sel_hi:[1,0,0] neg_lo:[0,0,1] neg_hi:[0,0,1]
	v_mov_b32_e32 v110, v202
	v_mov_b32_e32 v111, v209
	v_pk_add_f32 v[108:109], v[110:111], v[108:109]
	v_pk_mul_f32 v[110:111], v[122:123], s[34:35] op_sel_hi:[1,0]
	v_pk_mul_f32 v[102:103], v[126:127], s[26:27] op_sel_hi:[1,0]
	v_pk_fma_f32 v[212:213], v[166:167], s[30:31], v[110:111] op_sel:[0,0,1] op_sel_hi:[1,0,0]
	v_pk_fma_f32 v[216:217], v[166:167], s[30:31], v[110:111] op_sel:[0,0,1] op_sel_hi:[1,0,0] neg_lo:[0,0,1] neg_hi:[0,0,1]
	v_mov_b32_e32 v110, v212
	v_mov_b32_e32 v111, v217
	v_pk_add_f32 v[110:111], v[110:111], v[108:109]
	v_pk_mul_f32 v[108:109], v[8:9], s[48:49] op_sel_hi:[1,0]
	v_pk_fma_f32 v[24:25], v[194:195], s[24:25], v[102:103] op_sel:[0,0,1] op_sel_hi:[1,0,0]
	v_pk_fma_f32 v[240:241], v[12:13], s[10:11], v[108:109] op_sel:[0,0,1] op_sel_hi:[1,0,0]
	v_pk_fma_f32 v[108:109], v[12:13], s[10:11], v[108:109] op_sel:[0,0,1] op_sel_hi:[1,0,0] neg_lo:[0,0,1] neg_hi:[0,0,1]
	v_mov_b32_e32 v112, v240
	v_mov_b32_e32 v113, v109
	v_pk_add_f32 v[110:111], v[112:113], v[110:111]
	v_pk_fma_f32 v[112:113], v[124:125], s[12:13], v[114:115] op_sel:[0,0,1] op_sel_hi:[1,0,0]
	v_mov_b32_e32 v115, v117
	v_mov_b32_e32 v114, v112
	v_pk_add_f32 v[152:153], v[114:115], v[110:111]
	v_pk_mul_f32 v[114:115], v[200:201], s[22:23] op_sel_hi:[1,0]
	v_pk_fma_f32 v[102:103], v[194:195], s[24:25], v[102:103] op_sel:[0,0,1] op_sel_hi:[1,0,0] neg_lo:[0,0,1] neg_hi:[0,0,1]
	v_pk_fma_f32 v[118:119], v[198:199], s[18:19], v[114:115] op_sel:[0,0,1] op_sel_hi:[1,0,0]
	v_pk_fma_f32 v[114:115], v[198:199], s[18:19], v[114:115] op_sel:[0,0,1] op_sel_hi:[1,0,0] neg_lo:[0,0,1] neg_hi:[0,0,1]
	v_mov_b32_e32 v110, v118
	v_mov_b32_e32 v111, v115
	v_pk_add_f32 v[110:111], v[110:111], v[152:153]
	ds_write2_b64 v211, v[224:225], v[110:111] offset0:4 offset1:5
	v_pk_mul_f32 v[110:111], v[106:107], s[22:23] op_sel_hi:[1,0]
	v_pk_mul_f32 v[30:31], v[8:9], s[36:37] op_sel_hi:[1,0]
	v_pk_fma_f32 v[152:153], v[188:189], s[18:19], v[110:111] op_sel:[0,0,1] op_sel_hi:[1,0,0]
	v_pk_fma_f32 v[110:111], v[188:189], s[18:19], v[110:111] op_sel:[0,0,1] op_sel_hi:[1,0,0] neg_lo:[0,0,1] neg_hi:[0,0,1]
	v_mov_b32_e32 v224, v152
	v_mov_b32_e32 v225, v111
	v_pk_add_f32 v[224:225], v[104:105], v[224:225]
	v_pk_fma_f32 v[32:33], v[12:13], s[0:1], v[30:31] op_sel:[0,0,1] op_sel_hi:[1,0,0]
	v_pk_add_f32 v[98:99], v[182:183], v[224:225]
	v_pk_mul_f32 v[182:183], v[136:137], s[20:21] op_sel_hi:[1,0]
	v_pk_fma_f32 v[30:31], v[12:13], s[0:1], v[30:31] op_sel:[0,0,1] op_sel_hi:[1,0,0] neg_lo:[0,0,1] neg_hi:[0,0,1]
	v_pk_fma_f32 v[100:101], v[192:193], s[12:13], v[182:183] op_sel:[0,0,1] op_sel_hi:[1,0,0]
	v_pk_fma_f32 v[182:183], v[192:193], s[12:13], v[182:183] op_sel:[0,0,1] op_sel_hi:[1,0,0] neg_lo:[0,0,1] neg_hi:[0,0,1]
	v_mov_b32_e32 v224, v100
	v_mov_b32_e32 v225, v183
	v_pk_add_f32 v[98:99], v[224:225], v[98:99]
	v_mov_b32_e32 v224, v24
	v_mov_b32_e32 v225, v103
	v_pk_add_f32 v[26:27], v[224:225], v[98:99]
	v_pk_mul_f32 v[98:99], v[122:123], s[48:49] op_sel_hi:[1,0]
	v_pk_mul_f32 v[34:35], v[196:197], s[34:35] op_sel_hi:[1,0]
	v_pk_fma_f32 v[28:29], v[166:167], s[10:11], v[98:99] op_sel:[0,0,1] op_sel_hi:[1,0,0]
	v_pk_fma_f32 v[98:99], v[166:167], s[10:11], v[98:99] op_sel:[0,0,1] op_sel_hi:[1,0,0] neg_lo:[0,0,1] neg_hi:[0,0,1]
	v_mov_b32_e32 v224, v28
	v_mov_b32_e32 v225, v99
	v_pk_add_f32 v[26:27], v[224:225], v[26:27]
	v_mov_b32_e32 v224, v32
	v_mov_b32_e32 v225, v31
	v_pk_fma_f32 v[36:37], v[124:125], s[30:31], v[34:35] op_sel:[0,0,1] op_sel_hi:[1,0,0]
	v_pk_fma_f32 v[34:35], v[124:125], s[30:31], v[34:35] op_sel:[0,0,1] op_sel_hi:[1,0,0] neg_lo:[0,0,1] neg_hi:[0,0,1]
	v_pk_mul_f32 v[38:39], v[200:201], s[38:39] op_sel_hi:[1,0]
	v_pk_add_f32 v[26:27], v[224:225], v[26:27]
	v_mov_b32_e32 v224, v36
	v_mov_b32_e32 v225, v35
	v_pk_fma_f32 v[40:41], v[198:199], s[8:9], v[38:39] op_sel:[0,0,1] op_sel_hi:[1,0,0]
	v_pk_fma_f32 v[38:39], v[198:199], s[8:9], v[38:39] op_sel:[0,0,1] op_sel_hi:[1,0,0] neg_lo:[0,0,1] neg_hi:[0,0,1]
	v_pk_mul_f32 v[42:43], v[106:107], s[26:27] op_sel_hi:[1,0]
	v_pk_add_f32 v[26:27], v[224:225], v[26:27]
	v_mov_b32_e32 v224, v40
	v_mov_b32_e32 v225, v39
	v_pk_fma_f32 v[44:45], v[188:189], s[24:25], v[42:43] op_sel:[0,0,1] op_sel_hi:[1,0,0]
	v_pk_fma_f32 v[42:43], v[188:189], s[24:25], v[42:43] op_sel:[0,0,1] op_sel_hi:[1,0,0] neg_lo:[0,0,1] neg_hi:[0,0,1]
	v_pk_add_f32 v[26:27], v[224:225], v[26:27]
	v_mov_b32_e32 v224, v44
	v_mov_b32_e32 v225, v43
	v_pk_add_f32 v[46:47], v[104:105], v[224:225]
	v_pk_mul_f32 v[224:225], v[128:129], s[38:39] op_sel_hi:[1,0]
	v_mov_b32_e32 v1, v139
	v_pk_fma_f32 v[48:49], v[190:191], s[8:9], v[224:225] op_sel:[0,0,1] op_sel_hi:[1,0,0]
	v_pk_fma_f32 v[50:51], v[190:191], s[8:9], v[224:225] op_sel:[0,0,1] op_sel_hi:[1,0,0] neg_lo:[0,0,1] neg_hi:[0,0,1]
	v_mov_b32_e32 v224, v48
	v_mov_b32_e32 v225, v51
	v_pk_add_f32 v[46:47], v[224:225], v[46:47]
	v_pk_mul_f32 v[224:225], v[136:137], s[28:29] op_sel_hi:[1,0]
	v_mov_b32_e32 v93, v5
	v_pk_fma_f32 v[52:53], v[192:193], s[10:11], v[224:225] op_sel:[0,0,1] op_sel_hi:[1,0,0]
	v_pk_fma_f32 v[54:55], v[192:193], s[10:11], v[224:225] op_sel:[0,0,1] op_sel_hi:[1,0,0] neg_lo:[0,0,1] neg_hi:[0,0,1]
	v_mov_b32_e32 v224, v52
	v_mov_b32_e32 v225, v55
	v_pk_add_f32 v[46:47], v[224:225], v[46:47]
	v_pk_mul_f32 v[224:225], v[126:127], s[52:53] op_sel_hi:[1,0]
	v_pk_add_f32 v[0:1], v[104:105], v[0:1]
	v_pk_fma_f32 v[56:57], v[194:195], s[18:19], v[224:225] op_sel:[0,0,1] op_sel_hi:[1,0,0]
	v_pk_fma_f32 v[58:59], v[194:195], s[18:19], v[224:225] op_sel:[0,0,1] op_sel_hi:[1,0,0] neg_lo:[0,0,1] neg_hi:[0,0,1]
	v_mov_b32_e32 v224, v56
	v_mov_b32_e32 v225, v59
	v_pk_add_f32 v[46:47], v[224:225], v[46:47]
	v_pk_mul_f32 v[224:225], v[122:123], s[20:21] op_sel_hi:[1,0]
	v_pk_add_f32 v[0:1], v[92:93], v[0:1]
	v_pk_fma_f32 v[60:61], v[166:167], s[12:13], v[224:225] op_sel:[0,0,1] op_sel_hi:[1,0,0]
	v_pk_fma_f32 v[62:63], v[166:167], s[12:13], v[224:225] op_sel:[0,0,1] op_sel_hi:[1,0,0] neg_lo:[0,0,1] neg_hi:[0,0,1]
	v_mov_b32_e32 v224, v60
	v_mov_b32_e32 v225, v63
	v_pk_add_f32 v[46:47], v[224:225], v[46:47]
	v_pk_mul_f32 v[224:225], v[8:9], s[34:35] op_sel_hi:[1,0]
	v_mov_b32_e32 v207, v95
	v_pk_fma_f32 v[64:65], v[12:13], s[30:31], v[224:225] op_sel:[0,0,1] op_sel_hi:[1,0,0]
	v_pk_fma_f32 v[66:67], v[12:13], s[30:31], v[224:225] op_sel:[0,0,1] op_sel_hi:[1,0,0] neg_lo:[0,0,1] neg_hi:[0,0,1]
	v_mov_b32_e32 v224, v64
	v_mov_b32_e32 v225, v67
	v_pk_add_f32 v[46:47], v[224:225], v[46:47]
	v_pk_mul_f32 v[224:225], v[196:197], s[42:43] op_sel_hi:[1,0]
	v_pk_add_f32 v[0:1], v[206:207], v[0:1]
	v_mov_b32_e32 v209, v203
	v_pk_fma_f32 v[68:69], v[124:125], s[0:1], v[224:225] op_sel:[0,0,1] op_sel_hi:[1,0,0]
	v_pk_fma_f32 v[70:71], v[124:125], s[0:1], v[224:225] op_sel:[0,0,1] op_sel_hi:[1,0,0] neg_lo:[0,0,1] neg_hi:[0,0,1]
	v_pk_add_f32 v[0:1], v[208:209], v[0:1]
	v_mov_b32_e32 v217, v213
	v_mov_b32_e32 v224, v68
	;; [unrolled: 1-line block ×3, first 2 shown]
	v_pk_add_f32 v[0:1], v[216:217], v[0:1]
	v_mov_b32_e32 v109, v241
	v_pk_add_f32 v[46:47], v[224:225], v[46:47]
	v_pk_mul_f32 v[224:225], v[200:201], s[16:17] op_sel_hi:[1,0]
	v_pk_add_f32 v[0:1], v[108:109], v[0:1]
	v_mov_b32_e32 v117, v113
	v_pk_fma_f32 v[72:73], v[198:199], s[14:15], v[224:225] op_sel:[0,0,1] op_sel_hi:[1,0,0]
	v_pk_fma_f32 v[74:75], v[198:199], s[14:15], v[224:225] op_sel:[0,0,1] op_sel_hi:[1,0,0] neg_lo:[0,0,1] neg_hi:[0,0,1]
	v_pk_add_f32 v[0:1], v[116:117], v[0:1]
	v_mov_b32_e32 v115, v119
	v_mov_b32_e32 v224, v72
	v_mov_b32_e32 v225, v75
	v_pk_add_f32 v[0:1], v[114:115], v[0:1]
	v_accvgpr_read_b32 v115, a89
	v_pk_add_f32 v[46:47], v[224:225], v[46:47]
	v_accvgpr_read_b32 v112, a86
	ds_write2_b64 v211, v[26:27], v[46:47] offset0:6 offset1:7
	v_pk_mul_f32 v[26:27], v[106:107], s[34:35] op_sel_hi:[1,0]
	v_accvgpr_read_b32 v119, a93
	v_mov_b32_e32 v5, v112
	v_pk_fma_f32 v[46:47], v[188:189], s[30:31], v[26:27] op_sel:[0,0,1] op_sel_hi:[1,0,0]
	v_pk_fma_f32 v[26:27], v[188:189], s[30:31], v[26:27] op_sel:[0,0,1] op_sel_hi:[1,0,0] neg_lo:[0,0,1] neg_hi:[0,0,1]
	v_pk_mul_f32 v[106:107], v[128:129], s[40:41] op_sel_hi:[1,0]
	v_accvgpr_read_b32 v116, a90
	v_mov_b32_e32 v4, v112
	v_accvgpr_write_b32 a129, v5
	v_pk_fma_f32 v[128:129], v[190:191], s[12:13], v[106:107] op_sel:[0,0,1] op_sel_hi:[1,0,0]
	v_pk_fma_f32 v[106:107], v[190:191], s[12:13], v[106:107] op_sel:[0,0,1] op_sel_hi:[1,0,0] neg_lo:[0,0,1] neg_hi:[0,0,1]
	v_mov_b32_e32 v188, v46
	v_mov_b32_e32 v189, v27
	v_accvgpr_write_b32 a128, v4
	v_mov_b32_e32 v5, v116
	v_pk_add_f32 v[188:189], v[104:105], v[188:189]
	v_mov_b32_e32 v190, v128
	v_mov_b32_e32 v191, v107
	v_pk_mul_f32 v[136:137], v[136:137], s[26:27] op_sel_hi:[1,0]
	v_mov_b32_e32 v131, v121
	v_mov_b32_e32 v4, v116
	v_accvgpr_write_b32 a133, v5
	v_pk_add_f32 v[188:189], v[190:191], v[188:189]
	v_pk_fma_f32 v[190:191], v[192:193], s[24:25], v[136:137] op_sel:[0,0,1] op_sel_hi:[1,0,0]
	v_pk_fma_f32 v[136:137], v[192:193], s[24:25], v[136:137] op_sel:[0,0,1] op_sel_hi:[1,0,0] neg_lo:[0,0,1] neg_hi:[0,0,1]
	v_accvgpr_write_b32 a132, v4
	v_mov_b32_e32 v249, v133
	v_pk_add_f32 v[4:5], v[104:105], v[130:131]
	v_mov_b32_e32 v192, v190
	v_mov_b32_e32 v193, v137
	v_pk_mul_f32 v[126:127], v[126:127], s[42:43] op_sel_hi:[1,0]
	v_pk_add_f32 v[4:5], v[248:249], v[4:5]
	v_mov_b32_e32 v135, v141
	v_pk_add_f32 v[188:189], v[192:193], v[188:189]
	v_pk_fma_f32 v[192:193], v[194:195], s[0:1], v[126:127] op_sel:[0,0,1] op_sel_hi:[1,0,0]
	v_pk_fma_f32 v[126:127], v[194:195], s[0:1], v[126:127] op_sel:[0,0,1] op_sel_hi:[1,0,0] neg_lo:[0,0,1] neg_hi:[0,0,1]
	v_pk_add_f32 v[4:5], v[134:135], v[4:5]
	v_mov_b32_e32 v179, v145
	v_mov_b32_e32 v194, v192
	;; [unrolled: 1-line block ×3, first 2 shown]
	v_pk_mul_f32 v[122:123], v[122:123], s[22:23] op_sel_hi:[1,0]
	v_pk_add_f32 v[4:5], v[178:179], v[4:5]
	v_mov_b32_e32 v185, v149
	v_pk_add_f32 v[188:189], v[194:195], v[188:189]
	v_pk_fma_f32 v[194:195], v[166:167], s[18:19], v[122:123] op_sel:[0,0,1] op_sel_hi:[1,0,0]
	v_pk_fma_f32 v[122:123], v[166:167], s[18:19], v[122:123] op_sel:[0,0,1] op_sel_hi:[1,0,0] neg_lo:[0,0,1] neg_hi:[0,0,1]
	v_pk_add_f32 v[4:5], v[184:185], v[4:5]
	v_mov_b32_e32 v205, v187
	v_mov_b32_e32 v166, v194
	;; [unrolled: 1-line block ×3, first 2 shown]
	v_pk_mul_f32 v[8:9], v[8:9], s[38:39] op_sel_hi:[1,0]
	v_pk_add_f32 v[4:5], v[204:205], v[4:5]
	v_mov_b32_e32 v215, v157
	v_pk_add_f32 v[166:167], v[166:167], v[188:189]
	v_pk_fma_f32 v[188:189], v[12:13], s[8:9], v[8:9] op_sel:[0,0,1] op_sel_hi:[1,0,0]
	v_pk_fma_f32 v[8:9], v[12:13], s[8:9], v[8:9] op_sel:[0,0,1] op_sel_hi:[1,0,0] neg_lo:[0,0,1] neg_hi:[0,0,1]
	v_mov_b32_e32 v27, v47
	v_pk_add_f32 v[4:5], v[214:215], v[4:5]
	v_mov_b32_e32 v233, v219
	v_mov_b32_e32 v12, v188
	;; [unrolled: 1-line block ×4, first 2 shown]
	v_pk_add_f32 v[26:27], v[104:105], v[26:27]
	v_pk_add_f32 v[4:5], v[232:233], v[4:5]
	v_mov_b32_e32 v173, v143
	v_pk_add_f32 v[12:13], v[12:13], v[166:167]
	v_pk_mul_f32 v[166:167], v[196:197], s[16:17] op_sel_hi:[1,0]
	v_pk_add_f32 v[26:27], v[106:107], v[26:27]
	v_mov_b32_e32 v137, v191
	ds_write2_b64 v211, v[0:1], v[4:5] offset0:12 offset1:13
	v_pk_add_f32 v[0:1], v[104:105], v[172:173]
	v_mov_b32_e32 v169, v253
	v_pk_fma_f32 v[196:197], v[124:125], s[14:15], v[166:167] op_sel:[0,0,1] op_sel_hi:[1,0,0]
	v_pk_fma_f32 v[124:125], v[124:125], s[14:15], v[166:167] op_sel:[0,0,1] op_sel_hi:[1,0,0] neg_lo:[0,0,1] neg_hi:[0,0,1]
	v_pk_add_f32 v[26:27], v[136:137], v[26:27]
	v_mov_b32_e32 v127, v193
	v_pk_add_f32 v[0:1], v[168:169], v[0:1]
	v_mov_b32_e32 v175, v245
	v_mov_b32_e32 v166, v196
	;; [unrolled: 1-line block ×3, first 2 shown]
	v_pk_add_f32 v[26:27], v[126:127], v[26:27]
	v_mov_b32_e32 v123, v195
	v_pk_add_f32 v[0:1], v[174:175], v[0:1]
	v_mov_b32_e32 v15, v237
	v_pk_add_f32 v[12:13], v[166:167], v[12:13]
	v_pk_mul_f32 v[166:167], v[200:201], s[48:49] op_sel_hi:[1,0]
	v_pk_add_f32 v[26:27], v[122:123], v[26:27]
	v_mov_b32_e32 v9, v189
	v_pk_add_f32 v[0:1], v[14:15], v[0:1]
	v_mov_b32_e32 v3, v229
	v_mov_b32_e32 v255, v223
	v_pk_fma_f32 v[200:201], v[198:199], s[10:11], v[166:167] op_sel:[0,0,1] op_sel_hi:[1,0,0]
	v_pk_fma_f32 v[166:167], v[198:199], s[10:11], v[166:167] op_sel:[0,0,1] op_sel_hi:[1,0,0] neg_lo:[0,0,1] neg_hi:[0,0,1]
	v_pk_add_f32 v[8:9], v[8:9], v[26:27]
	v_mov_b32_e32 v125, v197
	v_pk_add_f32 v[0:1], v[2:3], v[0:1]
	v_pk_add_f32 v[2:3], v[104:105], v[254:255]
	v_mov_b32_e32 v177, v227
	v_mov_b32_e32 v198, v200
	;; [unrolled: 1-line block ×3, first 2 shown]
	v_pk_add_f32 v[8:9], v[124:125], v[8:9]
	v_mov_b32_e32 v167, v201
	v_pk_add_f32 v[2:3], v[176:177], v[2:3]
	v_mov_b32_e32 v143, v231
	v_pk_add_f32 v[12:13], v[198:199], v[12:13]
	v_pk_add_f32 v[8:9], v[166:167], v[8:9]
	v_mov_b32_e32 v43, v45
	v_mov_b32_e32 v111, v153
	v_pk_add_f32 v[2:3], v[142:143], v[2:3]
	v_mov_b32_e32 v147, v235
	ds_write2_b64 v211, v[12:13], v[8:9] offset0:8 offset1:9
	v_mov_b32_e32 v51, v49
	v_pk_add_f32 v[8:9], v[104:105], v[42:43]
	v_mov_b32_e32 v181, v97
	v_pk_add_f32 v[12:13], v[104:105], v[110:111]
	v_pk_add_f32 v[2:3], v[146:147], v[2:3]
	v_mov_b32_e32 v151, v239
	v_pk_add_f32 v[8:9], v[50:51], v[8:9]
	v_mov_b32_e32 v55, v53
	v_pk_add_f32 v[12:13], v[180:181], v[12:13]
	v_mov_b32_e32 v183, v101
	v_mov_b32_e32 v7, v161
	v_pk_add_f32 v[2:3], v[150:151], v[2:3]
	v_mov_b32_e32 v155, v243
	v_pk_add_f32 v[8:9], v[54:55], v[8:9]
	;; [unrolled: 2-line block ×7, first 2 shown]
	v_mov_b32_e32 v99, v29
	v_accvgpr_read_b32 v183, a81
	v_accvgpr_read_b32 v240, a94
	v_accvgpr_read_b32 v241, a94
	v_accvgpr_mov_b32 a94, a95
	v_accvgpr_read_b32 v24, a110
	v_pk_add_f32 v[0:1], v[10:11], v[0:1]
	v_mov_b32_e32 v221, v165
	v_pk_add_f32 v[2:3], v[158:159], v[2:3]
	v_mov_b32_e32 v163, v251
	;; [unrolled: 2-line block ×4, first 2 shown]
	v_accvgpr_read_b32 v182, a80
	v_accvgpr_read_b32 v181, a79
	;; [unrolled: 1-line block ×3, first 2 shown]
	v_accvgpr_mov_b32 a130, a96
	v_accvgpr_mov_b32 a131, a96
	;; [unrolled: 1-line block ×4, first 2 shown]
	v_accvgpr_read_b32 v25, a111
	v_accvgpr_read_b32 v26, a112
	;; [unrolled: 1-line block ×3, first 2 shown]
	v_pk_add_f32 v[0:1], v[220:221], v[0:1]
	v_pk_add_f32 v[2:3], v[162:163], v[2:3]
	v_accvgpr_read_b32 v223, a61
	v_pk_add_f32 v[8:9], v[66:67], v[8:9]
	v_mov_b32_e32 v71, v69
	v_pk_add_f32 v[12:13], v[30:31], v[12:13]
	v_mov_b32_e32 v35, v37
	v_accvgpr_mov_b32 a79, a95
	v_accvgpr_mov_b32 a80, a96
	;; [unrolled: 1-line block ×3, first 2 shown]
	v_mov_b32_e32 v134, v24
	v_mov_b32_e32 v135, v24
	;; [unrolled: 1-line block ×6, first 2 shown]
	v_accvgpr_write_b32 a97, v27
	ds_write2_b64 v211, v[0:1], v[2:3] offset0:14 offset1:15
	v_pk_add_f32 v[0:1], v[104:105], v[222:223]
	v_accvgpr_read_b32 v227, a115
	v_pk_add_f32 v[8:9], v[70:71], v[8:9]
	v_mov_b32_e32 v75, v73
	v_pk_add_f32 v[12:13], v[34:35], v[12:13]
	v_mov_b32_e32 v39, v41
	v_accvgpr_write_b32 a96, v26
	v_accvgpr_write_b32 a95, v25
	;; [unrolled: 1-line block ×3, first 2 shown]
	v_accvgpr_read_b32 v24, a106
	v_pk_add_f32 v[0:1], v[226:227], v[0:1]
	v_accvgpr_read_b32 v231, a135
	v_pk_add_f32 v[8:9], v[74:75], v[8:9]
	v_pk_add_f32 v[12:13], v[38:39], v[12:13]
	v_accvgpr_read_b32 v25, a107
	v_accvgpr_read_b32 v26, a108
	;; [unrolled: 1-line block ×3, first 2 shown]
	v_pk_add_f32 v[0:1], v[230:231], v[0:1]
	v_accvgpr_read_b32 v235, a137
	ds_write2_b64 v211, v[8:9], v[12:13] offset0:10 offset1:11
	v_accvgpr_read_b32 v118, a92
	v_accvgpr_read_b32 v117, a91
	v_mov_b32_e32 v178, v24
	v_mov_b32_e32 v179, v24
	;; [unrolled: 1-line block ×6, first 2 shown]
	v_accvgpr_write_b32 a93, v27
	v_pk_add_f32 v[0:1], v[234:235], v[0:1]
	v_accvgpr_read_b32 v239, a139
	v_accvgpr_write_b32 a92, v26
	v_accvgpr_write_b32 a91, v25
	;; [unrolled: 1-line block ×3, first 2 shown]
	v_accvgpr_read_b32 v24, a102
	v_pk_add_f32 v[0:1], v[238:239], v[0:1]
	v_accvgpr_read_b32 v243, a141
	v_accvgpr_read_b32 v52, a82
	;; [unrolled: 1-line block ×8, first 2 shown]
	v_accvgpr_mov_b32 a98, a99
	v_accvgpr_read_b32 v25, a103
	v_accvgpr_read_b32 v26, a104
	;; [unrolled: 1-line block ×3, first 2 shown]
	v_pk_add_f32 v[0:1], v[242:243], v[0:1]
	v_accvgpr_read_b32 v247, a143
	v_accvgpr_read_b32 v53, a83
	;; [unrolled: 1-line block ×18, first 2 shown]
	v_accvgpr_mov_b32 a100, a101
	v_accvgpr_mov_b32 a82, a98
	v_accvgpr_read_b32 v114, a88
	v_accvgpr_read_b32 v113, a87
	v_mov_b32_e32 v184, v24
	v_mov_b32_e32 v185, v24
	;; [unrolled: 1-line block ×6, first 2 shown]
	v_accvgpr_write_b32 a89, v27
	v_pk_add_f32 v[0:1], v[246:247], v[0:1]
	v_accvgpr_read_b32 v251, a145
	v_mov_b32_e32 v122, v20
	v_mov_b32_e32 v123, v20
	;; [unrolled: 1-line block ×48, first 2 shown]
	v_accvgpr_mov_b32 a83, a99
	v_accvgpr_mov_b32 a84, a100
	;; [unrolled: 1-line block ×3, first 2 shown]
	v_mov_b32_e32 v166, v118
	v_mov_b32_e32 v167, v118
	v_mov_b32_e32 v118, v119
	v_mov_b32_e32 v112, v113
	v_mov_b32_e32 v116, v117
	v_mov_b32_e32 v132, v114
	v_mov_b32_e32 v133, v114
	v_mov_b32_e32 v114, v115
	v_mov_b32_e32 v130, v76
	v_mov_b32_e32 v131, v76
	v_mov_b32_e32 v76, v77
	v_mov_b32_e32 v56, v78
	v_mov_b32_e32 v57, v78
	v_mov_b32_e32 v78, v79
	v_accvgpr_write_b32 a88, v26
	v_accvgpr_write_b32 a87, v25
	v_accvgpr_write_b32 a86, v24
	v_mov_b32_e32 v204, v84
	v_mov_b32_e32 v205, v84
	;; [unrolled: 1-line block ×12, first 2 shown]
	v_add_u32_e32 v121, 0x110, v210
	v_add_u32_e32 v120, 0x198, v210
	;; [unrolled: 1-line block ×3, first 2 shown]
	v_pk_add_f32 v[0:1], v[250:251], v[0:1]
	ds_write_b64 v211, v[0:1] offset:128
	s_and_saveexec_b64 s[56:57], vcc
	s_cbranch_execz .LBB0_13
; %bb.12:
	v_accvgpr_read_b32 v40, a116
	v_pk_add_f32 v[0:1], v[90:91], v[88:89]
	v_accvgpr_read_b32 v41, a117
	v_accvgpr_read_b32 v42, a118
	v_accvgpr_read_b32 v43, a119
	v_pk_add_f32 v[0:1], v[40:41], v[0:1]
	v_accvgpr_read_b32 v44, a120
	v_pk_add_f32 v[0:1], v[42:43], v[0:1]
	v_accvgpr_read_b32 v45, a121
	v_accvgpr_read_b32 v46, a122
	v_accvgpr_read_b32 v47, a123
	v_pk_add_f32 v[0:1], v[44:45], v[0:1]
	;; [unrolled: 6-line block ×5, first 2 shown]
	v_accvgpr_read_b32 v28, a46
	v_pk_add_f32 v[0:1], v[34:35], v[0:1]
	v_accvgpr_read_b32 v29, a47
	v_accvgpr_read_b32 v2, a29
	;; [unrolled: 1-line block ×5, first 2 shown]
	v_pk_add_f32 v[0:1], v[28:29], v[0:1]
	v_accvgpr_read_b32 v24, a42
	v_lshl_add_u32 v211, v3, 3, v2
	v_pk_add_f32 v[0:1], v[30:31], v[0:1]
	v_accvgpr_read_b32 v25, a43
	v_accvgpr_read_b32 v2, a40
	;; [unrolled: 1-line block ×4, first 2 shown]
	v_pk_add_f32 v[0:1], v[24:25], v[0:1]
	v_accvgpr_read_b32 v3, a41
	v_pk_add_f32 v[0:1], v[26:27], v[0:1]
	v_pk_add_f32 v[12:13], v[90:91], v[2:3] neg_lo:[0,1] neg_hi:[0,1]
	v_pk_add_f32 v[4:5], v[2:3], v[0:1]
	v_pk_add_f32 v[170:171], v[2:3], v[90:91]
	v_pk_mul_f32 v[2:3], v[12:13], s[20:21] op_sel_hi:[1,0]
	v_accvgpr_write_b32 a100, v166
	v_pk_fma_f32 v[6:7], v[170:171], s[12:13], v[2:3] op_sel:[0,0,1] op_sel_hi:[1,0,0]
	v_pk_fma_f32 v[2:3], v[170:171], s[12:13], v[2:3] op_sel:[0,0,1] op_sel_hi:[1,0,0] neg_lo:[0,0,1] neg_hi:[0,0,1]
	v_accvgpr_write_b32 a101, v167
	v_pk_add_f32 v[166:167], v[40:41], v[26:27] neg_lo:[0,1] neg_hi:[0,1]
	v_accvgpr_write_b32 a29, v7
	v_mov_b32_e32 v7, v3
	v_pk_add_f32 v[228:229], v[26:27], v[40:41]
	v_pk_add_f32 v[10:11], v[88:89], v[6:7]
	v_pk_mul_f32 v[6:7], v[166:167], s[36:37] op_sel_hi:[1,0]
	v_accvgpr_write_b32 a102, v240
	v_pk_fma_f32 v[14:15], v[228:229], s[0:1], v[6:7] op_sel:[0,0,1] op_sel_hi:[1,0,0]
	v_pk_fma_f32 v[6:7], v[228:229], s[0:1], v[6:7] op_sel:[0,0,1] op_sel_hi:[1,0,0] neg_lo:[0,0,1] neg_hi:[0,0,1]
	v_accvgpr_write_b32 a103, v241
	v_pk_add_f32 v[240:241], v[42:43], v[24:25] neg_lo:[0,1] neg_hi:[0,1]
	v_accvgpr_write_b32 a61, v15
	v_mov_b32_e32 v15, v7
	v_pk_add_f32 v[236:237], v[24:25], v[42:43]
	v_pk_add_f32 v[14:15], v[14:15], v[10:11]
	v_pk_mul_f32 v[10:11], v[240:241], s[44:45] op_sel_hi:[1,0]
	v_accvgpr_write_b32 a98, v108
	v_pk_fma_f32 v[24:25], v[236:237], s[8:9], v[10:11] op_sel:[0,0,1] op_sel_hi:[1,0,0]
	v_pk_fma_f32 v[10:11], v[236:237], s[8:9], v[10:11] op_sel:[0,0,1] op_sel_hi:[1,0,0] neg_lo:[0,0,1] neg_hi:[0,0,1]
	v_accvgpr_write_b32 a44, v136
	v_accvgpr_write_b32 a99, v109
	v_pk_add_f32 v[108:109], v[44:45], v[30:31] neg_lo:[0,1] neg_hi:[0,1]
	v_accvgpr_write_b32 a107, v25
	v_mov_b32_e32 v25, v11
	v_accvgpr_write_b32 a45, v137
	v_accvgpr_write_b32 a46, v138
	;; [unrolled: 1-line block ×3, first 2 shown]
	v_pk_add_f32 v[136:137], v[30:31], v[44:45]
	v_pk_add_f32 v[24:25], v[24:25], v[14:15]
	v_pk_mul_f32 v[14:15], v[108:109], s[28:29] op_sel_hi:[1,0]
	v_pk_add_f32 v[138:139], v[46:47], v[28:29] neg_lo:[0,1] neg_hi:[0,1]
	v_pk_fma_f32 v[26:27], v[136:137], s[10:11], v[14:15] op_sel:[0,0,1] op_sel_hi:[1,0,0]
	v_pk_fma_f32 v[14:15], v[136:137], s[10:11], v[14:15] op_sel:[0,0,1] op_sel_hi:[1,0,0] neg_lo:[0,0,1] neg_hi:[0,0,1]
	v_accvgpr_write_b32 a109, v27
	v_mov_b32_e32 v27, v15
	v_pk_add_f32 v[252:253], v[28:29], v[46:47]
	v_pk_add_f32 v[24:25], v[26:27], v[24:25]
	v_pk_mul_f32 v[26:27], v[138:139], s[16:17] op_sel_hi:[1,0]
	v_pk_add_f32 v[0:1], v[48:49], v[34:35] neg_lo:[0,1] neg_hi:[0,1]
	v_pk_fma_f32 v[28:29], v[252:253], s[14:15], v[26:27] op_sel:[0,0,1] op_sel_hi:[1,0,0]
	v_pk_fma_f32 v[92:93], v[252:253], s[14:15], v[26:27] op_sel:[0,0,1] op_sel_hi:[1,0,0] neg_lo:[0,0,1] neg_hi:[0,0,1]
	v_mov_b32_e32 v26, v28
	v_mov_b32_e32 v27, v93
	v_pk_add_f32 v[254:255], v[34:35], v[48:49]
	v_pk_add_f32 v[24:25], v[26:27], v[24:25]
	v_pk_mul_f32 v[26:27], v[0:1], s[22:23] op_sel_hi:[1,0]
	v_accvgpr_write_b32 a5, v29
	v_pk_fma_f32 v[28:29], v[254:255], s[18:19], v[26:27] op_sel:[0,0,1] op_sel_hi:[1,0,0]
	v_pk_fma_f32 v[96:97], v[254:255], s[18:19], v[26:27] op_sel:[0,0,1] op_sel_hi:[1,0,0] neg_lo:[0,0,1] neg_hi:[0,0,1]
	v_pk_add_f32 v[250:251], v[50:51], v[32:33] neg_lo:[0,1] neg_hi:[0,1]
	v_mov_b32_e32 v26, v28
	v_mov_b32_e32 v27, v97
	v_pk_add_f32 v[248:249], v[32:33], v[50:51]
	v_pk_add_f32 v[24:25], v[26:27], v[24:25]
	v_pk_mul_f32 v[26:27], v[250:251], s[26:27] op_sel_hi:[1,0]
	v_accvgpr_write_b32 a111, v29
	v_pk_fma_f32 v[28:29], v[248:249], s[24:25], v[26:27] op_sel:[0,0,1] op_sel_hi:[1,0,0]
	v_pk_fma_f32 v[100:101], v[248:249], s[24:25], v[26:27] op_sel:[0,0,1] op_sel_hi:[1,0,0] neg_lo:[0,0,1] neg_hi:[0,0,1]
	v_pk_add_f32 v[246:247], v[36:37], v[38:39] neg_lo:[0,1] neg_hi:[0,1]
	v_mov_b32_e32 v26, v28
	v_mov_b32_e32 v27, v101
	v_pk_add_f32 v[244:245], v[38:39], v[36:37]
	v_pk_add_f32 v[24:25], v[26:27], v[24:25]
	v_pk_mul_f32 v[26:27], v[246:247], s[34:35] op_sel_hi:[1,0]
	v_accvgpr_write_b32 a113, v29
	v_pk_fma_f32 v[28:29], v[244:245], s[30:31], v[26:27] op_sel:[0,0,1] op_sel_hi:[1,0,0]
	v_pk_fma_f32 v[104:105], v[244:245], s[30:31], v[26:27] op_sel:[0,0,1] op_sel_hi:[1,0,0] neg_lo:[0,0,1] neg_hi:[0,0,1]
	v_mov_b32_e32 v26, v28
	v_mov_b32_e32 v27, v105
	v_pk_add_f32 v[24:25], v[26:27], v[24:25]
	ds_write2_b64 v211, v[4:5], v[24:25] offset1:1
	v_pk_mul_f32 v[4:5], v[12:13], s[36:37] op_sel_hi:[1,0]
	v_accvgpr_write_b32 a56, v152
	v_pk_fma_f32 v[24:25], v[170:171], s[0:1], v[4:5] op_sel:[0,0,1] op_sel_hi:[1,0,0]
	v_pk_fma_f32 v[140:141], v[170:171], s[0:1], v[4:5] op_sel:[0,0,1] op_sel_hi:[1,0,0] neg_lo:[0,0,1] neg_hi:[0,0,1]
	v_mov_b32_e32 v4, v24
	v_mov_b32_e32 v11, v25
	v_pk_mul_f32 v[24:25], v[166:167], s[28:29] op_sel_hi:[1,0]
	v_mov_b32_e32 v5, v141
	v_pk_fma_f32 v[26:27], v[228:229], s[10:11], v[24:25] op_sel:[0,0,1] op_sel_hi:[1,0,0]
	v_pk_fma_f32 v[144:145], v[228:229], s[10:11], v[24:25] op_sel:[0,0,1] op_sel_hi:[1,0,0] neg_lo:[0,0,1] neg_hi:[0,0,1]
	v_pk_add_f32 v[4:5], v[88:89], v[4:5]
	v_mov_b32_e32 v24, v26
	v_mov_b32_e32 v25, v145
	v_pk_add_f32 v[4:5], v[24:25], v[4:5]
	v_pk_mul_f32 v[24:25], v[240:241], s[22:23] op_sel_hi:[1,0]
	v_mov_b32_e32 v15, v27
	v_pk_fma_f32 v[26:27], v[236:237], s[18:19], v[24:25] op_sel:[0,0,1] op_sel_hi:[1,0,0]
	v_pk_fma_f32 v[148:149], v[236:237], s[18:19], v[24:25] op_sel:[0,0,1] op_sel_hi:[1,0,0] neg_lo:[0,0,1] neg_hi:[0,0,1]
	v_mov_b32_e32 v24, v26
	v_mov_b32_e32 v25, v149
	v_pk_add_f32 v[4:5], v[24:25], v[4:5]
	v_pk_mul_f32 v[24:25], v[108:109], s[34:35] op_sel_hi:[1,0]
	v_mov_b32_e32 v93, v27
	v_pk_fma_f32 v[26:27], v[136:137], s[30:31], v[24:25] op_sel:[0,0,1] op_sel_hi:[1,0,0]
	v_accvgpr_write_b32 a57, v153
	v_pk_fma_f32 v[152:153], v[136:137], s[30:31], v[24:25] op_sel:[0,0,1] op_sel_hi:[1,0,0] neg_lo:[0,0,1] neg_hi:[0,0,1]
	v_mov_b32_e32 v24, v26
	v_mov_b32_e32 v25, v153
	v_pk_add_f32 v[4:5], v[24:25], v[4:5]
	v_pk_mul_f32 v[24:25], v[138:139], s[50:51] op_sel_hi:[1,0]
	v_mov_b32_e32 v97, v27
	v_pk_fma_f32 v[26:27], v[252:253], s[24:25], v[24:25] op_sel:[0,0,1] op_sel_hi:[1,0,0]
	v_pk_fma_f32 v[156:157], v[252:253], s[24:25], v[24:25] op_sel:[0,0,1] op_sel_hi:[1,0,0] neg_lo:[0,0,1] neg_hi:[0,0,1]
	v_mov_b32_e32 v24, v26
	v_mov_b32_e32 v25, v157
	v_pk_add_f32 v[4:5], v[24:25], v[4:5]
	v_pk_mul_f32 v[24:25], v[0:1], s[46:47] op_sel_hi:[1,0]
	v_mov_b32_e32 v101, v27
	v_pk_fma_f32 v[26:27], v[254:255], s[14:15], v[24:25] op_sel:[0,0,1] op_sel_hi:[1,0,0]
	;; [unrolled: 7-line block ×3, first 2 shown]
	v_pk_fma_f32 v[164:165], v[248:249], s[8:9], v[24:25] op_sel:[0,0,1] op_sel_hi:[1,0,0] neg_lo:[0,0,1] neg_hi:[0,0,1]
	v_mov_b32_e32 v24, v26
	v_mov_b32_e32 v25, v165
	v_pk_add_f32 v[4:5], v[24:25], v[4:5]
	v_pk_mul_f32 v[24:25], v[246:247], s[40:41] op_sel_hi:[1,0]
	v_accvgpr_write_b32 a117, v27
	v_pk_fma_f32 v[26:27], v[244:245], s[12:13], v[24:25] op_sel:[0,0,1] op_sel_hi:[1,0,0]
	v_pk_fma_f32 v[168:169], v[244:245], s[12:13], v[24:25] op_sel:[0,0,1] op_sel_hi:[1,0,0] neg_lo:[0,0,1] neg_hi:[0,0,1]
	v_mov_b32_e32 v24, v26
	v_mov_b32_e32 v25, v169
	v_pk_add_f32 v[4:5], v[24:25], v[4:5]
	v_pk_mul_f32 v[24:25], v[12:13], s[44:45] op_sel_hi:[1,0]
	v_accvgpr_write_b32 a119, v27
	v_pk_fma_f32 v[26:27], v[170:171], s[8:9], v[24:25] op_sel:[0,0,1] op_sel_hi:[1,0,0]
	v_pk_fma_f32 v[172:173], v[170:171], s[8:9], v[24:25] op_sel:[0,0,1] op_sel_hi:[1,0,0] neg_lo:[0,0,1] neg_hi:[0,0,1]
	v_mov_b32_e32 v24, v26
	v_mov_b32_e32 v141, v27
	v_pk_mul_f32 v[26:27], v[166:167], s[22:23] op_sel_hi:[1,0]
	v_accvgpr_write_b32 a115, v29
	v_mov_b32_e32 v25, v173
	v_pk_fma_f32 v[28:29], v[228:229], s[18:19], v[26:27] op_sel:[0,0,1] op_sel_hi:[1,0,0]
	v_pk_fma_f32 v[176:177], v[228:229], s[18:19], v[26:27] op_sel:[0,0,1] op_sel_hi:[1,0,0] neg_lo:[0,0,1] neg_hi:[0,0,1]
	v_pk_add_f32 v[24:25], v[88:89], v[24:25]
	v_mov_b32_e32 v26, v28
	v_mov_b32_e32 v27, v177
	v_pk_add_f32 v[24:25], v[26:27], v[24:25]
	v_pk_mul_f32 v[26:27], v[240:241], s[54:55] op_sel_hi:[1,0]
	v_mov_b32_e32 v145, v29
	v_pk_fma_f32 v[28:29], v[236:237], s[30:31], v[26:27] op_sel:[0,0,1] op_sel_hi:[1,0,0]
	v_pk_fma_f32 v[222:223], v[236:237], s[30:31], v[26:27] op_sel:[0,0,1] op_sel_hi:[1,0,0] neg_lo:[0,0,1] neg_hi:[0,0,1]
	v_mov_b32_e32 v26, v28
	v_mov_b32_e32 v27, v223
	v_pk_add_f32 v[24:25], v[26:27], v[24:25]
	v_pk_mul_f32 v[26:27], v[108:109], s[46:47] op_sel_hi:[1,0]
	v_mov_b32_e32 v149, v29
	v_pk_fma_f32 v[28:29], v[136:137], s[14:15], v[26:27] op_sel:[0,0,1] op_sel_hi:[1,0,0]
	v_pk_fma_f32 v[226:227], v[136:137], s[14:15], v[26:27] op_sel:[0,0,1] op_sel_hi:[1,0,0] neg_lo:[0,0,1] neg_hi:[0,0,1]
	;; [unrolled: 7-line block ×6, first 2 shown]
	v_mov_b32_e32 v26, v28
	v_mov_b32_e32 v27, v243
	v_pk_add_f32 v[24:25], v[26:27], v[24:25]
	ds_write2_b64 v211, v[4:5], v[24:25] offset0:2 offset1:3
	v_pk_mul_f32 v[4:5], v[12:13], s[28:29] op_sel_hi:[1,0]
	v_pk_mul_f32 v[26:27], v[166:167], s[34:35] op_sel_hi:[1,0]
	v_pk_fma_f32 v[24:25], v[170:171], s[10:11], v[4:5] op_sel:[0,0,1] op_sel_hi:[1,0,0]
	v_pk_fma_f32 v[4:5], v[170:171], s[10:11], v[4:5] op_sel:[0,0,1] op_sel_hi:[1,0,0] neg_lo:[0,0,1] neg_hi:[0,0,1]
	v_mov_b32_e32 v169, v29
	v_mov_b32_e32 v173, v25
	;; [unrolled: 1-line block ×3, first 2 shown]
	v_pk_fma_f32 v[28:29], v[228:229], s[30:31], v[26:27] op_sel:[0,0,1] op_sel_hi:[1,0,0]
	v_pk_fma_f32 v[90:91], v[228:229], s[30:31], v[26:27] op_sel:[0,0,1] op_sel_hi:[1,0,0] neg_lo:[0,0,1] neg_hi:[0,0,1]
	v_pk_add_f32 v[24:25], v[88:89], v[24:25]
	v_mov_b32_e32 v26, v28
	v_mov_b32_e32 v27, v91
	v_pk_add_f32 v[24:25], v[26:27], v[24:25]
	v_pk_mul_f32 v[26:27], v[240:241], s[46:47] op_sel_hi:[1,0]
	v_mov_b32_e32 v177, v29
	v_pk_fma_f32 v[28:29], v[236:237], s[14:15], v[26:27] op_sel:[0,0,1] op_sel_hi:[1,0,0]
	v_pk_fma_f32 v[94:95], v[236:237], s[14:15], v[26:27] op_sel:[0,0,1] op_sel_hi:[1,0,0] neg_lo:[0,0,1] neg_hi:[0,0,1]
	v_mov_b32_e32 v26, v28
	v_mov_b32_e32 v27, v95
	v_pk_add_f32 v[24:25], v[26:27], v[24:25]
	v_pk_mul_f32 v[26:27], v[108:109], s[40:41] op_sel_hi:[1,0]
	v_mov_b32_e32 v223, v29
	v_pk_fma_f32 v[28:29], v[136:137], s[12:13], v[26:27] op_sel:[0,0,1] op_sel_hi:[1,0,0]
	v_pk_fma_f32 v[98:99], v[136:137], s[12:13], v[26:27] op_sel:[0,0,1] op_sel_hi:[1,0,0] neg_lo:[0,0,1] neg_hi:[0,0,1]
	v_mov_b32_e32 v26, v28
	v_mov_b32_e32 v27, v99
	v_pk_add_f32 v[24:25], v[26:27], v[24:25]
	v_pk_mul_f32 v[26:27], v[138:139], s[44:45] op_sel_hi:[1,0]
	v_mov_b32_e32 v227, v29
	v_pk_fma_f32 v[28:29], v[252:253], s[8:9], v[26:27] op_sel:[0,0,1] op_sel_hi:[1,0,0]
	v_pk_fma_f32 v[102:103], v[252:253], s[8:9], v[26:27] op_sel:[0,0,1] op_sel_hi:[1,0,0] neg_lo:[0,0,1] neg_hi:[0,0,1]
	v_mov_b32_e32 v26, v28
	v_mov_b32_e32 v27, v103
	v_pk_add_f32 v[24:25], v[26:27], v[24:25]
	v_pk_mul_f32 v[26:27], v[0:1], s[26:27] op_sel_hi:[1,0]
	v_mov_b32_e32 v231, v29
	v_pk_fma_f32 v[28:29], v[254:255], s[24:25], v[26:27] op_sel:[0,0,1] op_sel_hi:[1,0,0]
	v_pk_fma_f32 v[142:143], v[254:255], s[24:25], v[26:27] op_sel:[0,0,1] op_sel_hi:[1,0,0] neg_lo:[0,0,1] neg_hi:[0,0,1]
	v_mov_b32_e32 v26, v28
	v_mov_b32_e32 v27, v143
	v_pk_add_f32 v[24:25], v[26:27], v[24:25]
	v_pk_mul_f32 v[26:27], v[250:251], s[52:53] op_sel_hi:[1,0]
	v_mov_b32_e32 v235, v29
	v_pk_fma_f32 v[28:29], v[248:249], s[18:19], v[26:27] op_sel:[0,0,1] op_sel_hi:[1,0,0]
	v_pk_fma_f32 v[146:147], v[248:249], s[18:19], v[26:27] op_sel:[0,0,1] op_sel_hi:[1,0,0] neg_lo:[0,0,1] neg_hi:[0,0,1]
	v_mov_b32_e32 v26, v28
	v_mov_b32_e32 v27, v147
	v_pk_add_f32 v[24:25], v[26:27], v[24:25]
	v_pk_mul_f32 v[26:27], v[246:247], s[42:43] op_sel_hi:[1,0]
	v_mov_b32_e32 v239, v29
	v_pk_fma_f32 v[28:29], v[244:245], s[0:1], v[26:27] op_sel:[0,0,1] op_sel_hi:[1,0,0]
	v_pk_fma_f32 v[150:151], v[244:245], s[0:1], v[26:27] op_sel:[0,0,1] op_sel_hi:[1,0,0] neg_lo:[0,0,1] neg_hi:[0,0,1]
	v_mov_b32_e32 v26, v28
	v_mov_b32_e32 v27, v151
	v_pk_add_f32 v[24:25], v[26:27], v[24:25]
	v_pk_mul_f32 v[26:27], v[12:13], s[16:17] op_sel_hi:[1,0]
	v_mov_b32_e32 v243, v29
	v_pk_fma_f32 v[28:29], v[170:171], s[14:15], v[26:27] op_sel:[0,0,1] op_sel_hi:[1,0,0]
	v_accvgpr_write_b32 a62, v180
	v_accvgpr_write_b32 a63, v181
	;; [unrolled: 1-line block ×4, first 2 shown]
	v_pk_fma_f32 v[182:183], v[170:171], s[14:15], v[26:27] op_sel:[0,0,1] op_sel_hi:[1,0,0] neg_lo:[0,0,1] neg_hi:[0,0,1]
	v_mov_b32_e32 v26, v28
	v_mov_b32_e32 v91, v29
	v_pk_mul_f32 v[28:29], v[166:167], s[50:51] op_sel_hi:[1,0]
	v_mov_b32_e32 v27, v183
	v_pk_fma_f32 v[30:31], v[228:229], s[24:25], v[28:29] op_sel:[0,0,1] op_sel_hi:[1,0,0]
	v_pk_fma_f32 v[154:155], v[228:229], s[24:25], v[28:29] op_sel:[0,0,1] op_sel_hi:[1,0,0] neg_lo:[0,0,1] neg_hi:[0,0,1]
	v_pk_add_f32 v[26:27], v[88:89], v[26:27]
	v_mov_b32_e32 v28, v30
	v_mov_b32_e32 v29, v155
	v_pk_add_f32 v[26:27], v[28:29], v[26:27]
	v_pk_mul_f32 v[28:29], v[240:241], s[42:43] op_sel_hi:[1,0]
	v_mov_b32_e32 v95, v31
	v_pk_fma_f32 v[30:31], v[236:237], s[0:1], v[28:29] op_sel:[0,0,1] op_sel_hi:[1,0,0]
	v_pk_fma_f32 v[158:159], v[236:237], s[0:1], v[28:29] op_sel:[0,0,1] op_sel_hi:[1,0,0] neg_lo:[0,0,1] neg_hi:[0,0,1]
	v_mov_b32_e32 v28, v30
	v_mov_b32_e32 v29, v159
	v_pk_add_f32 v[26:27], v[28:29], v[26:27]
	v_pk_mul_f32 v[28:29], v[108:109], s[44:45] op_sel_hi:[1,0]
	v_mov_b32_e32 v99, v31
	v_pk_fma_f32 v[30:31], v[136:137], s[8:9], v[28:29] op_sel:[0,0,1] op_sel_hi:[1,0,0]
	v_pk_fma_f32 v[162:163], v[136:137], s[8:9], v[28:29] op_sel:[0,0,1] op_sel_hi:[1,0,0] neg_lo:[0,0,1] neg_hi:[0,0,1]
	;; [unrolled: 7-line block ×6, first 2 shown]
	v_mov_b32_e32 v28, v30
	v_mov_b32_e32 v29, v233
	v_pk_add_f32 v[26:27], v[28:29], v[26:27]
	ds_write2_b64 v211, v[24:25], v[26:27] offset0:4 offset1:5
	v_pk_mul_f32 v[24:25], v[12:13], s[22:23] op_sel_hi:[1,0]
	v_accvgpr_write_b32 a121, v31
	v_pk_fma_f32 v[28:29], v[170:171], s[18:19], v[24:25] op_sel:[0,0,1] op_sel_hi:[1,0,0]
	v_pk_fma_f32 v[24:25], v[170:171], s[18:19], v[24:25] op_sel:[0,0,1] op_sel_hi:[1,0,0] neg_lo:[0,0,1] neg_hi:[0,0,1]
	v_pk_mul_f32 v[30:31], v[166:167], s[46:47] op_sel_hi:[1,0]
	v_mov_b32_e32 v155, v29
	v_mov_b32_e32 v29, v25
	v_pk_fma_f32 v[34:35], v[228:229], s[14:15], v[30:31] op_sel:[0,0,1] op_sel_hi:[1,0,0]
	v_pk_fma_f32 v[30:31], v[228:229], s[14:15], v[30:31] op_sel:[0,0,1] op_sel_hi:[1,0,0] neg_lo:[0,0,1] neg_hi:[0,0,1]
	v_pk_add_f32 v[28:29], v[88:89], v[28:29]
	v_mov_b32_e32 v159, v35
	v_mov_b32_e32 v35, v31
	v_pk_add_f32 v[28:29], v[34:35], v[28:29]
	v_pk_mul_f32 v[34:35], v[240:241], s[20:21] op_sel_hi:[1,0]
	v_accvgpr_write_b32 a69, v55
	v_pk_fma_f32 v[38:39], v[236:237], s[12:13], v[34:35] op_sel:[0,0,1] op_sel_hi:[1,0,0]
	v_pk_fma_f32 v[34:35], v[236:237], s[12:13], v[34:35] op_sel:[0,0,1] op_sel_hi:[1,0,0] neg_lo:[0,0,1] neg_hi:[0,0,1]
	v_mov_b32_e32 v163, v39
	v_mov_b32_e32 v39, v35
	v_pk_add_f32 v[28:29], v[38:39], v[28:29]
	v_pk_mul_f32 v[38:39], v[108:109], s[26:27] op_sel_hi:[1,0]
	v_accvgpr_write_b32 a68, v54
	v_pk_fma_f32 v[40:41], v[136:137], s[24:25], v[38:39] op_sel:[0,0,1] op_sel_hi:[1,0,0]
	v_pk_fma_f32 v[38:39], v[136:137], s[24:25], v[38:39] op_sel:[0,0,1] op_sel_hi:[1,0,0] neg_lo:[0,0,1] neg_hi:[0,0,1]
	;; [unrolled: 7-line block ×6, first 2 shown]
	v_accvgpr_write_b32 a54, v60
	v_accvgpr_write_b32 a55, v61
	v_mov_b32_e32 v58, v26
	v_mov_b32_e32 v59, v55
	v_pk_add_f32 v[28:29], v[58:59], v[28:29]
	v_pk_mul_f32 v[58:59], v[12:13], s[26:27] op_sel_hi:[1,0]
	v_accvgpr_write_b32 a48, v64
	v_pk_fma_f32 v[60:61], v[170:171], s[24:25], v[58:59] op_sel:[0,0,1] op_sel_hi:[1,0,0]
	v_pk_fma_f32 v[58:59], v[170:171], s[24:25], v[58:59] op_sel:[0,0,1] op_sel_hi:[1,0,0] neg_lo:[0,0,1] neg_hi:[0,0,1]
	v_accvgpr_write_b32 a49, v65
	v_accvgpr_write_b32 a50, v66
	;; [unrolled: 1-line block ×3, first 2 shown]
	v_pk_mul_f32 v[64:65], v[166:167], s[38:39] op_sel_hi:[1,0]
	v_mov_b32_e32 v62, v60
	v_mov_b32_e32 v63, v59
	v_pk_fma_f32 v[66:67], v[228:229], s[8:9], v[64:65] op_sel:[0,0,1] op_sel_hi:[1,0,0]
	v_pk_fma_f32 v[64:65], v[228:229], s[8:9], v[64:65] op_sel:[0,0,1] op_sel_hi:[1,0,0] neg_lo:[0,0,1] neg_hi:[0,0,1]
	v_pk_add_f32 v[62:63], v[88:89], v[62:63]
	v_mov_b32_e32 v68, v66
	v_mov_b32_e32 v69, v65
	v_pk_add_f32 v[62:63], v[68:69], v[62:63]
	v_pk_mul_f32 v[68:69], v[240:241], s[28:29] op_sel_hi:[1,0]
	v_accvgpr_write_b32 a40, v70
	v_accvgpr_write_b32 a41, v71
	;; [unrolled: 1-line block ×4, first 2 shown]
	v_pk_fma_f32 v[70:71], v[236:237], s[10:11], v[68:69] op_sel:[0,0,1] op_sel_hi:[1,0,0]
	v_pk_fma_f32 v[68:69], v[236:237], s[10:11], v[68:69] op_sel:[0,0,1] op_sel_hi:[1,0,0] neg_lo:[0,0,1] neg_hi:[0,0,1]
	v_mov_b32_e32 v72, v70
	v_mov_b32_e32 v73, v69
	v_pk_add_f32 v[62:63], v[72:73], v[62:63]
	v_pk_mul_f32 v[72:73], v[108:109], s[52:53] op_sel_hi:[1,0]
	v_mov_b32_e32 v3, v107
	v_pk_fma_f32 v[106:107], v[136:137], s[18:19], v[72:73] op_sel:[0,0,1] op_sel_hi:[1,0,0]
	v_pk_fma_f32 v[72:73], v[136:137], s[18:19], v[72:73] op_sel:[0,0,1] op_sel_hi:[1,0,0] neg_lo:[0,0,1] neg_hi:[0,0,1]
	v_mov_b32_e32 v74, v106
	v_mov_b32_e32 v75, v73
	v_pk_add_f32 v[62:63], v[74:75], v[62:63]
	v_pk_mul_f32 v[74:75], v[138:139], s[20:21] op_sel_hi:[1,0]
	v_accvgpr_write_b32 a70, v112
	v_accvgpr_write_b32 a71, v113
	;; [unrolled: 1-line block ×4, first 2 shown]
	v_pk_fma_f32 v[112:113], v[252:253], s[12:13], v[74:75] op_sel:[0,0,1] op_sel_hi:[1,0,0]
	v_pk_fma_f32 v[74:75], v[252:253], s[12:13], v[74:75] op_sel:[0,0,1] op_sel_hi:[1,0,0] neg_lo:[0,0,1] neg_hi:[0,0,1]
	v_accvgpr_write_b32 a74, v116
	v_accvgpr_write_b32 a75, v117
	;; [unrolled: 1-line block ×4, first 2 shown]
	v_mov_b32_e32 v116, v112
	v_mov_b32_e32 v117, v75
	v_pk_add_f32 v[62:63], v[116:117], v[62:63]
	v_pk_mul_f32 v[116:117], v[0:1], s[34:35] op_sel_hi:[1,0]
	v_mov_b32_e32 v5, v120
	v_pk_fma_f32 v[114:115], v[254:255], s[30:31], v[116:117] op_sel:[0,0,1] op_sel_hi:[1,0,0]
	v_pk_fma_f32 v[116:117], v[254:255], s[30:31], v[116:117] op_sel:[0,0,1] op_sel_hi:[1,0,0] neg_lo:[0,0,1] neg_hi:[0,0,1]
	v_mov_b32_e32 v48, v114
	v_mov_b32_e32 v49, v117
	v_pk_add_f32 v[48:49], v[48:49], v[62:63]
	v_pk_mul_f32 v[62:63], v[250:251], s[42:43] op_sel_hi:[1,0]
	v_mov_b32_e32 v7, v121
	v_pk_fma_f32 v[120:121], v[248:249], s[0:1], v[62:63] op_sel:[0,0,1] op_sel_hi:[1,0,0]
	v_pk_fma_f32 v[62:63], v[248:249], s[0:1], v[62:63] op_sel:[0,0,1] op_sel_hi:[1,0,0] neg_lo:[0,0,1] neg_hi:[0,0,1]
	v_mov_b32_e32 v118, v120
	v_mov_b32_e32 v119, v63
	v_pk_add_f32 v[48:49], v[118:119], v[48:49]
	v_pk_mul_f32 v[118:119], v[246:247], s[16:17] op_sel_hi:[1,0]
	v_accvgpr_write_b32 a104, v132
	v_accvgpr_write_b32 a105, v133
	v_pk_fma_f32 v[132:133], v[244:245], s[14:15], v[118:119] op_sel:[0,0,1] op_sel_hi:[1,0,0]
	v_pk_fma_f32 v[118:119], v[244:245], s[14:15], v[118:119] op_sel:[0,0,1] op_sel_hi:[1,0,0] neg_lo:[0,0,1] neg_hi:[0,0,1]
	v_mov_b32_e32 v52, v132
	v_mov_b32_e32 v53, v119
	v_pk_add_f32 v[48:49], v[52:53], v[48:49]
	v_pk_mul_f32 v[12:13], v[12:13], s[34:35] op_sel_hi:[1,0]
	ds_write2_b64 v211, v[28:29], v[48:49] offset0:6 offset1:7
	v_pk_fma_f32 v[28:29], v[170:171], s[30:31], v[12:13] op_sel:[0,0,1] op_sel_hi:[1,0,0]
	v_pk_fma_f32 v[12:13], v[170:171], s[30:31], v[12:13] op_sel:[0,0,1] op_sel_hi:[1,0,0] neg_lo:[0,0,1] neg_hi:[0,0,1]
	v_pk_mul_f32 v[48:49], v[166:167], s[40:41] op_sel_hi:[1,0]
	v_mov_b32_e32 v166, v28
	v_pk_fma_f32 v[52:53], v[228:229], s[12:13], v[48:49] op_sel:[0,0,1] op_sel_hi:[1,0,0]
	v_pk_fma_f32 v[48:49], v[228:229], s[12:13], v[48:49] op_sel:[0,0,1] op_sel_hi:[1,0,0] neg_lo:[0,0,1] neg_hi:[0,0,1]
	v_mov_b32_e32 v167, v13
	v_pk_add_f32 v[166:167], v[88:89], v[166:167]
	v_mov_b32_e32 v170, v52
	v_mov_b32_e32 v171, v49
	v_pk_add_f32 v[166:167], v[170:171], v[166:167]
	v_pk_mul_f32 v[170:171], v[240:241], s[26:27] op_sel_hi:[1,0]
	v_pk_mul_f32 v[108:109], v[108:109], s[42:43] op_sel_hi:[1,0]
	v_pk_fma_f32 v[228:229], v[236:237], s[24:25], v[170:171] op_sel:[0,0,1] op_sel_hi:[1,0,0]
	v_pk_fma_f32 v[170:171], v[236:237], s[24:25], v[170:171] op_sel:[0,0,1] op_sel_hi:[1,0,0] neg_lo:[0,0,1] neg_hi:[0,0,1]
	v_mov_b32_e32 v236, v228
	v_mov_b32_e32 v237, v171
	v_pk_add_f32 v[166:167], v[236:237], v[166:167]
	v_pk_fma_f32 v[236:237], v[136:137], s[0:1], v[108:109] op_sel:[0,0,1] op_sel_hi:[1,0,0]
	v_pk_fma_f32 v[108:109], v[136:137], s[0:1], v[108:109] op_sel:[0,0,1] op_sel_hi:[1,0,0] neg_lo:[0,0,1] neg_hi:[0,0,1]
	v_mov_b32_e32 v136, v236
	v_mov_b32_e32 v137, v109
	v_pk_mul_f32 v[138:139], v[138:139], s[22:23] op_sel_hi:[1,0]
	v_pk_add_f32 v[136:137], v[136:137], v[166:167]
	v_pk_fma_f32 v[166:167], v[252:253], s[18:19], v[138:139] op_sel:[0,0,1] op_sel_hi:[1,0,0]
	v_pk_fma_f32 v[138:139], v[252:253], s[18:19], v[138:139] op_sel:[0,0,1] op_sel_hi:[1,0,0] neg_lo:[0,0,1] neg_hi:[0,0,1]
	v_mov_b32_e32 v13, v29
	v_mov_b32_e32 v240, v166
	;; [unrolled: 1-line block ×3, first 2 shown]
	v_pk_mul_f32 v[0:1], v[0:1], s[38:39] op_sel_hi:[1,0]
	v_mov_b32_e32 v49, v53
	v_pk_add_f32 v[12:13], v[88:89], v[12:13]
	v_pk_add_f32 v[136:137], v[240:241], v[136:137]
	v_pk_fma_f32 v[240:241], v[254:255], s[8:9], v[0:1] op_sel:[0,0,1] op_sel_hi:[1,0,0]
	v_pk_fma_f32 v[0:1], v[254:255], s[8:9], v[0:1] op_sel:[0,0,1] op_sel_hi:[1,0,0] neg_lo:[0,0,1] neg_hi:[0,0,1]
	v_pk_add_f32 v[12:13], v[48:49], v[12:13]
	v_mov_b32_e32 v171, v229
	v_mov_b32_e32 v252, v240
	;; [unrolled: 1-line block ×3, first 2 shown]
	v_pk_mul_f32 v[250:251], v[250:251], s[16:17] op_sel_hi:[1,0]
	v_pk_add_f32 v[12:13], v[170:171], v[12:13]
	v_mov_b32_e32 v109, v237
	v_pk_add_f32 v[136:137], v[252:253], v[136:137]
	v_pk_fma_f32 v[252:253], v[248:249], s[14:15], v[250:251] op_sel:[0,0,1] op_sel_hi:[1,0,0]
	v_pk_fma_f32 v[248:249], v[248:249], s[14:15], v[250:251] op_sel:[0,0,1] op_sel_hi:[1,0,0] neg_lo:[0,0,1] neg_hi:[0,0,1]
	v_pk_add_f32 v[12:13], v[108:109], v[12:13]
	v_mov_b32_e32 v139, v167
	v_mov_b32_e32 v250, v252
	;; [unrolled: 1-line block ×3, first 2 shown]
	v_pk_mul_f32 v[246:247], v[246:247], s[48:49] op_sel_hi:[1,0]
	v_pk_add_f32 v[12:13], v[138:139], v[12:13]
	v_mov_b32_e32 v1, v241
	v_pk_add_f32 v[136:137], v[250:251], v[136:137]
	v_pk_fma_f32 v[250:251], v[244:245], s[10:11], v[246:247] op_sel:[0,0,1] op_sel_hi:[1,0,0]
	v_pk_fma_f32 v[244:245], v[244:245], s[10:11], v[246:247] op_sel:[0,0,1] op_sel_hi:[1,0,0] neg_lo:[0,0,1] neg_hi:[0,0,1]
	v_pk_add_f32 v[0:1], v[0:1], v[12:13]
	v_mov_b32_e32 v249, v253
	v_mov_b32_e32 v246, v250
	v_mov_b32_e32 v247, v245
	v_pk_add_f32 v[0:1], v[248:249], v[0:1]
	v_mov_b32_e32 v245, v251
	v_pk_add_f32 v[136:137], v[246:247], v[136:137]
	v_pk_add_f32 v[0:1], v[244:245], v[0:1]
	v_mov_b32_e32 v59, v61
	v_mov_b32_e32 v25, v155
	ds_write2_b64 v211, v[136:137], v[0:1] offset0:8 offset1:9
	v_pk_add_f32 v[0:1], v[88:89], v[58:59]
	v_mov_b32_e32 v65, v67
	v_pk_add_f32 v[12:13], v[88:89], v[24:25]
	v_mov_b32_e32 v31, v159
	;; [unrolled: 2-line block ×14, first 2 shown]
	v_mov_b32_e32 v120, v5
	v_pk_add_f32 v[0:1], v[118:119], v[0:1]
	v_pk_add_f32 v[12:13], v[54:55], v[12:13]
	v_mov_b32_e32 v183, v91
	v_mov_b32_e32 v5, v173
	ds_write2_b64 v211, v[0:1], v[12:13] offset0:10 offset1:11
	v_pk_add_f32 v[0:1], v[88:89], v[182:183]
	v_mov_b32_e32 v155, v95
	v_pk_add_f32 v[4:5], v[88:89], v[4:5]
	v_mov_b32_e32 v91, v177
	;; [unrolled: 2-line block ×12, first 2 shown]
	v_pk_add_f32 v[0:1], v[220:221], v[0:1]
	v_accvgpr_read_b32 v233, a121
	v_pk_add_f32 v[4:5], v[146:147], v[4:5]
	v_mov_b32_e32 v151, v243
	v_pk_add_f32 v[0:1], v[232:233], v[0:1]
	v_pk_add_f32 v[4:5], v[150:151], v[4:5]
	v_mov_b32_e32 v173, v141
	v_mov_b32_e32 v141, v11
	ds_write2_b64 v211, v[0:1], v[4:5] offset0:12 offset1:13
	v_pk_add_f32 v[0:1], v[88:89], v[172:173]
	v_mov_b32_e32 v177, v145
	v_pk_add_f32 v[4:5], v[88:89], v[140:141]
	v_mov_b32_e32 v145, v15
	;; [unrolled: 2-line block ×11, first 2 shown]
	v_pk_add_f32 v[4:5], v[160:161], v[4:5]
	v_accvgpr_read_b32 v165, a117
	v_pk_add_f32 v[0:1], v[238:239], v[0:1]
	v_mov_b32_e32 v243, v169
	v_pk_add_f32 v[4:5], v[164:165], v[4:5]
	v_accvgpr_read_b32 v169, a119
	v_mov_b32_e32 v107, v3
	v_pk_add_f32 v[0:1], v[242:243], v[0:1]
	v_pk_add_f32 v[4:5], v[168:169], v[4:5]
	v_accvgpr_read_b32 v3, a29
	v_mov_b32_e32 v121, v7
	ds_write2_b64 v211, v[0:1], v[4:5] offset0:14 offset1:15
	v_pk_add_f32 v[0:1], v[88:89], v[2:3]
	v_accvgpr_read_b32 v7, a61
	v_pk_add_f32 v[0:1], v[6:7], v[0:1]
	v_accvgpr_read_b32 v11, a107
	;; [unrolled: 2-line block ×6, first 2 shown]
	v_accvgpr_read_b32 v109, a99
	v_accvgpr_read_b32 v167, a101
	;; [unrolled: 1-line block ×13, first 2 shown]
	v_pk_add_f32 v[0:1], v[100:101], v[0:1]
	v_accvgpr_read_b32 v105, a115
	v_accvgpr_read_b32 v108, a98
	;; [unrolled: 1-line block ×30, first 2 shown]
	v_pk_add_f32 v[0:1], v[104:105], v[0:1]
	ds_write_b64 v211, v[0:1] offset:128
.LBB0_13:
	s_or_b64 exec, exec, s[56:57]
	s_waitcnt lgkmcnt(0)
	; wave barrier
	s_waitcnt lgkmcnt(0)
	ds_read2_b64 v[12:15], v210 offset1:17
	ds_read2_b64 v[0:3], v210 offset0:68 offset1:85
	ds_read2_b64 v[88:91], v210 offset0:170 offset1:187
	ds_read2_b64 v[92:95], v210 offset0:238 offset1:255
	v_add_u32_e32 v10, 0x800, v210
	ds_read2_b64 v[96:99], v10 offset0:84 offset1:101
	s_waitcnt lgkmcnt(3)
	v_pk_mul_f32 v[24:25], v[20:21], v[2:3]
	v_mov_b32_e32 v4, s2
	v_pk_fma_f32 v[26:27], v[122:123], v[2:3], v[24:25] op_sel:[0,0,1] op_sel_hi:[1,1,0]
	v_pk_fma_f32 v[2:3], v[122:123], v[2:3], v[24:25] op_sel:[0,0,1] op_sel_hi:[1,1,0] neg_lo:[0,0,1] neg_hi:[0,0,1]
	v_accvgpr_read_b32 v106, a28
	v_mov_b32_e32 v27, v3
	s_waitcnt lgkmcnt(2)
	v_pk_mul_f32 v[2:3], v[22:23], v[88:89]
	s_mov_b32 s2, 0x3f737871
	v_pk_fma_f32 v[24:25], v[124:125], v[88:89], v[2:3] op_sel:[0,0,1] op_sel_hi:[1,1,0]
	v_pk_fma_f32 v[2:3], v[124:125], v[88:89], v[2:3] op_sel:[0,0,1] op_sel_hi:[1,1,0] neg_lo:[0,0,1] neg_hi:[0,0,1]
	v_mad_u64_u32 v[6:7], s[0:1], s6, v106, 0
	v_mov_b32_e32 v25, v3
	s_waitcnt lgkmcnt(1)
	v_pk_mul_f32 v[2:3], v[16:17], v[94:95]
	s_mov_b32 s6, 0x3f167918
	v_pk_fma_f32 v[28:29], v[126:127], v[94:95], v[2:3] op_sel:[0,0,1] op_sel_hi:[1,1,0]
	v_pk_fma_f32 v[2:3], v[126:127], v[94:95], v[2:3] op_sel:[0,0,1] op_sel_hi:[1,1,0] neg_lo:[0,0,1] neg_hi:[0,0,1]
	v_pk_add_f32 v[42:43], v[26:27], v[24:25] neg_lo:[0,1] neg_hi:[0,1]
	v_mov_b32_e32 v29, v3
	s_waitcnt lgkmcnt(0)
	v_pk_mul_f32 v[2:3], v[18:19], v[96:97]
	v_pk_add_f32 v[32:33], v[24:25], v[28:29]
	v_pk_fma_f32 v[30:31], v[128:129], v[96:97], v[2:3] op_sel:[0,0,1] op_sel_hi:[1,1,0]
	v_pk_fma_f32 v[2:3], v[128:129], v[96:97], v[2:3] op_sel:[0,0,1] op_sel_hi:[1,1,0] neg_lo:[0,0,1] neg_hi:[0,0,1]
	v_pk_fma_f32 v[32:33], v[32:33], 0.5, v[12:13] op_sel_hi:[1,0,1] neg_lo:[1,0,0] neg_hi:[1,0,0]
	v_mov_b32_e32 v31, v3
	v_pk_add_f32 v[34:35], v[26:27], v[30:31] neg_lo:[0,1] neg_hi:[0,1]
	v_pk_add_f32 v[38:39], v[24:25], v[28:29] neg_lo:[0,1] neg_hi:[0,1]
	v_pk_mul_f32 v[36:37], v[34:35], s[2:3] op_sel_hi:[1,0]
	v_pk_add_f32 v[44:45], v[30:31], v[28:29] neg_lo:[0,1] neg_hi:[0,1]
	v_pk_mul_f32 v[40:41], v[38:39], s[6:7] op_sel_hi:[1,0]
	v_pk_add_f32 v[42:43], v[42:43], v[44:45]
	v_pk_add_f32 v[44:45], v[32:33], v[36:37] op_sel:[0,1] op_sel_hi:[1,0] neg_lo:[0,1] neg_hi:[0,1]
	v_pk_add_f32 v[32:33], v[32:33], v[36:37] op_sel:[0,1] op_sel_hi:[1,0]
	v_pk_add_f32 v[36:37], v[44:45], v[40:41] op_sel:[0,1] op_sel_hi:[1,0] neg_lo:[0,1] neg_hi:[0,1]
	v_pk_add_f32 v[32:33], v[32:33], v[40:41] op_sel:[0,1] op_sel_hi:[1,0]
	v_pk_add_f32 v[2:3], v[12:13], v[26:27]
	s_mov_b32 s0, 0x3e9e377a
	v_mov_b32_e32 v40, v36
	v_mov_b32_e32 v41, v33
	ds_read2_b64 v[94:97], v210 offset0:136 offset1:153
	v_pk_add_f32 v[2:3], v[2:3], v[24:25]
	v_pk_fma_f32 v[48:49], v[42:43], s[0:1], v[40:41] op_sel_hi:[1,0,1]
	v_pk_add_f32 v[40:41], v[26:27], v[30:31]
	v_pk_add_f32 v[24:25], v[24:25], v[26:27] neg_lo:[0,1] neg_hi:[0,1]
	v_pk_add_f32 v[26:27], v[28:29], v[30:31] neg_lo:[0,1] neg_hi:[0,1]
	v_pk_add_f32 v[2:3], v[2:3], v[28:29]
	v_pk_fma_f32 v[12:13], v[40:41], 0.5, v[12:13] op_sel_hi:[1,0,1] neg_lo:[1,0,0] neg_hi:[1,0,0]
	v_pk_add_f32 v[24:25], v[24:25], v[26:27]
	v_pk_mul_f32 v[26:27], v[38:39], s[2:3] op_sel_hi:[1,0]
	v_pk_add_f32 v[2:3], v[2:3], v[30:31]
	v_pk_mul_f32 v[28:29], v[34:35], s[6:7] op_sel_hi:[1,0]
	v_pk_add_f32 v[30:31], v[12:13], v[26:27] op_sel:[0,1] op_sel_hi:[1,0]
	v_pk_add_f32 v[12:13], v[12:13], v[26:27] op_sel:[0,1] op_sel_hi:[1,0] neg_lo:[0,1] neg_hi:[0,1]
	v_pk_add_f32 v[26:27], v[30:31], v[28:29] op_sel:[0,1] op_sel_hi:[1,0] neg_lo:[0,1] neg_hi:[0,1]
	v_pk_add_f32 v[12:13], v[12:13], v[28:29] op_sel:[0,1] op_sel_hi:[1,0]
	v_mov_b32_e32 v28, v26
	v_mov_b32_e32 v29, v13
	;; [unrolled: 1-line block ×3, first 2 shown]
	ds_read2_b64 v[100:103], v10 offset0:50 offset1:67
	ds_read_b64 v[26:27], v210 offset:3264
	s_waitcnt lgkmcnt(2)
	v_pk_mul_f32 v[30:31], v[52:53], v[96:97]
	v_mov_b32_e32 v33, v37
	v_pk_fma_f32 v[50:51], v[188:189], v[96:97], v[30:31] op_sel:[0,0,1] op_sel_hi:[1,1,0]
	v_pk_fma_f32 v[30:31], v[188:189], v[96:97], v[30:31] op_sel:[0,0,1] op_sel_hi:[1,1,0] neg_lo:[0,0,1] neg_hi:[0,0,1]
	v_pk_fma_f32 v[28:29], v[24:25], s[0:1], v[28:29] op_sel_hi:[1,0,1]
	v_mov_b32_e32 v51, v31
	v_pk_mul_f32 v[30:31], v[54:55], v[92:93]
	v_pk_fma_f32 v[12:13], v[24:25], s[0:1], v[12:13] op_sel_hi:[1,0,1]
	v_pk_fma_f32 v[52:53], v[192:193], v[92:93], v[30:31] op_sel:[0,0,1] op_sel_hi:[1,1,0]
	v_pk_fma_f32 v[30:31], v[192:193], v[92:93], v[30:31] op_sel:[0,0,1] op_sel_hi:[1,1,0] neg_lo:[0,0,1] neg_hi:[0,0,1]
	v_pk_fma_f32 v[24:25], v[42:43], s[0:1], v[32:33] op_sel_hi:[1,0,1]
	v_mov_b32_e32 v53, v31
	s_waitcnt lgkmcnt(1)
	v_pk_mul_f32 v[30:31], v[58:59], v[102:103]
	v_accvgpr_read_b32 v11, a60
	v_pk_fma_f32 v[54:55], v[190:191], v[102:103], v[30:31] op_sel:[0,0,1] op_sel_hi:[1,1,0]
	v_pk_fma_f32 v[30:31], v[190:191], v[102:103], v[30:31] op_sel:[0,0,1] op_sel_hi:[1,1,0] neg_lo:[0,0,1] neg_hi:[0,0,1]
	ds_read2_b64 v[36:39], v210 offset0:34 offset1:51
	ds_read2_b64 v[44:47], v210 offset0:204 offset1:221
	;; [unrolled: 1-line block ×5, first 2 shown]
	v_mov_b32_e32 v55, v31
	s_waitcnt lgkmcnt(5)
	v_pk_mul_f32 v[30:31], v[60:61], v[26:27]
	s_waitcnt lgkmcnt(0)
	v_pk_fma_f32 v[58:59], v[196:197], v[26:27], v[30:31] op_sel:[0,0,1] op_sel_hi:[1,1,0]
	v_pk_fma_f32 v[26:27], v[196:197], v[26:27], v[30:31] op_sel:[0,0,1] op_sel_hi:[1,1,0] neg_lo:[0,0,1] neg_hi:[0,0,1]
	v_pk_mul_f32 v[30:31], v[180:181], v[94:95]
	v_pk_mul_f32 v[20:21], v[20:21], v[32:33]
	v_pk_fma_f32 v[60:61], v[194:195], v[94:95], v[30:31] op_sel:[0,0,1] op_sel_hi:[1,1,0]
	v_pk_fma_f32 v[30:31], v[194:195], v[94:95], v[30:31] op_sel:[0,0,1] op_sel_hi:[1,1,0] neg_lo:[0,0,1] neg_hi:[0,0,1]
	v_pk_fma_f32 v[94:95], v[122:123], v[32:33], v[20:21] op_sel:[0,0,1] op_sel_hi:[1,1,0]
	v_pk_fma_f32 v[20:21], v[122:123], v[32:33], v[20:21] op_sel:[0,0,1] op_sel_hi:[1,1,0] neg_lo:[0,0,1] neg_hi:[0,0,1]
	v_mov_b32_e32 v61, v31
	v_mov_b32_e32 v95, v21
	v_pk_mul_f32 v[20:21], v[22:23], v[90:91]
	v_pk_mul_f32 v[30:31], v[182:183], v[46:47]
	v_pk_fma_f32 v[22:23], v[124:125], v[90:91], v[20:21] op_sel:[0,0,1] op_sel_hi:[1,1,0]
	v_pk_fma_f32 v[20:21], v[124:125], v[90:91], v[20:21] op_sel:[0,0,1] op_sel_hi:[1,1,0] neg_lo:[0,0,1] neg_hi:[0,0,1]
	v_pk_mul_f32 v[16:17], v[16:17], v[40:41]
	v_pk_fma_f32 v[62:63], v[198:199], v[46:47], v[30:31] op_sel:[0,0,1] op_sel_hi:[1,1,0]
	v_pk_fma_f32 v[30:31], v[198:199], v[46:47], v[30:31] op_sel:[0,0,1] op_sel_hi:[1,1,0] neg_lo:[0,0,1] neg_hi:[0,0,1]
	v_mov_b32_e32 v23, v21
	v_pk_fma_f32 v[20:21], v[126:127], v[40:41], v[16:17] op_sel:[0,0,1] op_sel_hi:[1,1,0]
	v_pk_fma_f32 v[16:17], v[126:127], v[40:41], v[16:17] op_sel:[0,0,1] op_sel_hi:[1,1,0] neg_lo:[0,0,1] neg_hi:[0,0,1]
	v_mov_b32_e32 v63, v31
	v_pk_mul_f32 v[30:31], v[64:65], v[100:101]
	v_mov_b32_e32 v21, v17
	v_pk_mul_f32 v[16:17], v[18:19], v[98:99]
	v_pk_fma_f32 v[46:47], v[200:201], v[100:101], v[30:31] op_sel:[0,0,1] op_sel_hi:[1,1,0]
	v_pk_fma_f32 v[30:31], v[200:201], v[100:101], v[30:31] op_sel:[0,0,1] op_sel_hi:[1,1,0] neg_lo:[0,0,1] neg_hi:[0,0,1]
	v_pk_fma_f32 v[18:19], v[128:129], v[98:99], v[16:17] op_sel:[0,0,1] op_sel_hi:[1,1,0]
	v_pk_fma_f32 v[16:17], v[128:129], v[98:99], v[16:17] op_sel:[0,0,1] op_sel_hi:[1,1,0] neg_lo:[0,0,1] neg_hi:[0,0,1]
	v_mov_b32_e32 v47, v31
	v_pk_mul_f32 v[30:31], v[66:67], v[104:105]
	v_pk_mul_f32 v[66:67], v[136:137], v[34:35]
	v_mov_b32_e32 v19, v17
	v_pk_add_f32 v[16:17], v[22:23], v[20:21]
	v_pk_fma_f32 v[68:69], v[202:203], v[34:35], v[66:67] op_sel:[0,0,1] op_sel_hi:[1,1,0]
	v_pk_fma_f32 v[34:35], v[202:203], v[34:35], v[66:67] op_sel:[0,0,1] op_sel_hi:[1,1,0] neg_lo:[0,0,1] neg_hi:[0,0,1]
	v_pk_fma_f32 v[16:17], v[16:17], 0.5, v[14:15] op_sel_hi:[1,0,1] neg_lo:[1,0,0] neg_hi:[1,0,0]
	v_pk_add_f32 v[32:33], v[94:95], v[18:19] neg_lo:[0,1] neg_hi:[0,1]
	v_pk_add_f32 v[90:91], v[94:95], v[22:23] neg_lo:[0,1] neg_hi:[0,1]
	;; [unrolled: 1-line block ×3, first 2 shown]
	; wave barrier
	ds_write2_b64 v210, v[2:3], v[48:49] offset1:17
	ds_write2_b64 v210, v[28:29], v[12:13] offset0:34 offset1:51
	v_pk_add_f32 v[2:3], v[14:15], v[94:95]
	v_mov_b32_e32 v69, v35
	v_pk_mul_f32 v[34:35], v[138:139], v[44:45]
	v_pk_add_f32 v[40:41], v[22:23], v[20:21] neg_lo:[0,1] neg_hi:[0,1]
	v_pk_add_f32 v[90:91], v[90:91], v[96:97]
	v_pk_fma_f32 v[96:97], v[32:33], s[2:3], v[16:17] op_sel:[1,0,0] op_sel_hi:[0,0,1]
	v_pk_fma_f32 v[16:17], v[32:33], s[2:3], v[16:17] op_sel:[1,0,0] op_sel_hi:[0,0,1] neg_lo:[1,0,0] neg_hi:[1,0,0]
	v_pk_add_f32 v[2:3], v[2:3], v[22:23]
	v_pk_fma_f32 v[66:67], v[208:209], v[44:45], v[34:35] op_sel:[0,0,1] op_sel_hi:[1,1,0]
	v_pk_fma_f32 v[34:35], v[208:209], v[44:45], v[34:35] op_sel:[0,0,1] op_sel_hi:[1,1,0] neg_lo:[0,0,1] neg_hi:[0,0,1]
	v_pk_fma_f32 v[16:17], v[40:41], s[6:7], v[16:17] op_sel:[1,0,0] op_sel_hi:[0,0,1] neg_lo:[1,0,0] neg_hi:[1,0,0]
	v_pk_fma_f32 v[96:97], v[40:41], s[6:7], v[96:97] op_sel:[1,0,0] op_sel_hi:[0,0,1]
	v_pk_add_f32 v[2:3], v[2:3], v[20:21]
	v_mov_b32_e32 v67, v35
	v_pk_mul_f32 v[34:35], v[70:71], v[42:43]
	v_mov_b32_e32 v99, v17
	v_pk_add_f32 v[2:3], v[2:3], v[18:19]
	v_mov_b32_e32 v17, v97
	v_pk_add_f32 v[12:13], v[94:95], v[18:19]
	v_pk_fma_f32 v[44:45], v[212:213], v[42:43], v[34:35] op_sel:[0,0,1] op_sel_hi:[1,1,0]
	v_pk_fma_f32 v[34:35], v[212:213], v[42:43], v[34:35] op_sel:[0,0,1] op_sel_hi:[1,1,0] neg_lo:[0,0,1] neg_hi:[0,0,1]
	ds_write2_b64 v210, v[24:25], v[2:3] offset0:68 offset1:85
	v_pk_fma_f32 v[2:3], v[90:91], s[0:1], v[16:17] op_sel_hi:[1,0,1]
	v_pk_fma_f32 v[12:13], v[12:13], 0.5, v[14:15] op_sel_hi:[1,0,1] neg_lo:[1,0,0] neg_hi:[1,0,0]
	v_pk_add_f32 v[14:15], v[22:23], v[94:95] neg_lo:[0,1] neg_hi:[0,1]
	v_pk_add_f32 v[16:17], v[20:21], v[18:19] neg_lo:[0,1] neg_hi:[0,1]
	v_mov_b32_e32 v45, v35
	v_pk_mul_f32 v[34:35], v[72:73], v[102:103]
	v_pk_add_f32 v[14:15], v[14:15], v[16:17]
	v_pk_fma_f32 v[16:17], v[40:41], s[2:3], v[12:13] op_sel:[1,0,0] op_sel_hi:[0,0,1] neg_lo:[1,0,0] neg_hi:[1,0,0]
	v_pk_fma_f32 v[12:13], v[40:41], s[2:3], v[12:13] op_sel:[1,0,0] op_sel_hi:[0,0,1]
	v_pk_fma_f32 v[42:43], v[216:217], v[102:103], v[34:35] op_sel:[0,0,1] op_sel_hi:[1,1,0]
	v_pk_fma_f32 v[34:35], v[216:217], v[102:103], v[34:35] op_sel:[0,0,1] op_sel_hi:[1,1,0] neg_lo:[0,0,1] neg_hi:[0,0,1]
	v_pk_fma_f32 v[12:13], v[32:33], s[6:7], v[12:13] op_sel:[1,0,0] op_sel_hi:[0,0,1] neg_lo:[1,0,0] neg_hi:[1,0,0]
	v_pk_fma_f32 v[16:17], v[32:33], s[6:7], v[16:17] op_sel:[1,0,0] op_sel_hi:[0,0,1]
	v_mov_b32_e32 v43, v35
	v_pk_add_f32 v[34:35], v[66:67], v[44:45]
	v_mov_b32_e32 v19, v13
	v_mov_b32_e32 v13, v17
	v_pk_fma_f32 v[34:35], v[34:35], 0.5, v[36:37] op_sel_hi:[1,0,1] neg_lo:[1,0,0] neg_hi:[1,0,0]
	v_pk_add_f32 v[70:71], v[68:69], v[42:43] neg_lo:[0,1] neg_hi:[0,1]
	v_pk_add_f32 v[74:75], v[68:69], v[66:67] neg_lo:[0,1] neg_hi:[0,1]
	;; [unrolled: 1-line block ×3, first 2 shown]
	v_mov_b32_e32 v98, v96
	v_mov_b32_e32 v18, v16
	v_pk_fma_f32 v[12:13], v[14:15], s[0:1], v[12:13] op_sel_hi:[1,0,1]
	v_pk_add_f32 v[72:73], v[66:67], v[44:45] neg_lo:[0,1] neg_hi:[0,1]
	v_pk_add_f32 v[74:75], v[74:75], v[88:89]
	v_pk_fma_f32 v[88:89], v[70:71], s[2:3], v[34:35] op_sel:[1,0,0] op_sel_hi:[0,0,1]
	v_pk_fma_f32 v[34:35], v[70:71], s[2:3], v[34:35] op_sel:[1,0,0] op_sel_hi:[0,0,1] neg_lo:[1,0,0] neg_hi:[1,0,0]
	v_pk_fma_f32 v[98:99], v[90:91], s[0:1], v[98:99] op_sel_hi:[1,0,1]
	v_pk_fma_f32 v[18:19], v[14:15], s[0:1], v[18:19] op_sel_hi:[1,0,1]
	ds_write2_b64 v210, v[2:3], v[12:13] offset0:102 offset1:119
	ds_write2_b64 v210, v[18:19], v[98:99] offset0:136 offset1:153
	v_pk_add_f32 v[2:3], v[36:37], v[68:69]
	v_pk_fma_f32 v[34:35], v[72:73], s[6:7], v[34:35] op_sel:[1,0,0] op_sel_hi:[0,0,1] neg_lo:[1,0,0] neg_hi:[1,0,0]
	v_pk_fma_f32 v[88:89], v[72:73], s[6:7], v[88:89] op_sel:[1,0,0] op_sel_hi:[0,0,1]
	v_pk_add_f32 v[2:3], v[2:3], v[66:67]
	v_mov_b32_e32 v93, v35
	v_pk_add_f32 v[2:3], v[2:3], v[44:45]
	v_mov_b32_e32 v35, v89
	v_pk_add_f32 v[2:3], v[2:3], v[42:43]
	v_pk_fma_f32 v[12:13], v[74:75], s[0:1], v[34:35] op_sel_hi:[1,0,1]
	ds_write2_b64 v11, v[2:3], v[12:13] offset0:170 offset1:187
	v_pk_add_f32 v[2:3], v[68:69], v[42:43]
	v_pk_add_f32 v[12:13], v[66:67], v[68:69] neg_lo:[0,1] neg_hi:[0,1]
	v_pk_fma_f32 v[2:3], v[2:3], 0.5, v[36:37] op_sel_hi:[1,0,1] neg_lo:[1,0,0] neg_hi:[1,0,0]
	v_pk_add_f32 v[14:15], v[44:45], v[42:43] neg_lo:[0,1] neg_hi:[0,1]
	v_pk_fma_f32 v[64:65], v[206:207], v[104:105], v[30:31] op_sel:[0,0,1] op_sel_hi:[1,1,0]
	v_pk_add_f32 v[12:13], v[12:13], v[14:15]
	v_pk_fma_f32 v[14:15], v[72:73], s[2:3], v[2:3] op_sel:[1,0,0] op_sel_hi:[0,0,1] neg_lo:[1,0,0] neg_hi:[1,0,0]
	v_pk_fma_f32 v[2:3], v[72:73], s[2:3], v[2:3] op_sel:[1,0,0] op_sel_hi:[0,0,1]
	v_pk_fma_f32 v[2:3], v[70:71], s[6:7], v[2:3] op_sel:[1,0,0] op_sel_hi:[0,0,1] neg_lo:[1,0,0] neg_hi:[1,0,0]
	v_pk_fma_f32 v[14:15], v[70:71], s[6:7], v[14:15] op_sel:[1,0,0] op_sel_hi:[0,0,1]
	v_pk_fma_f32 v[30:31], v[206:207], v[104:105], v[30:31] op_sel:[0,0,1] op_sel_hi:[1,1,0] neg_lo:[0,0,1] neg_hi:[0,0,1]
	v_mov_b32_e32 v16, v14
	v_mov_b32_e32 v17, v3
	;; [unrolled: 1-line block ×5, first 2 shown]
	v_pk_fma_f32 v[16:17], v[12:13], s[0:1], v[16:17] op_sel_hi:[1,0,1]
	v_pk_fma_f32 v[2:3], v[12:13], s[0:1], v[2:3] op_sel_hi:[1,0,1]
	;; [unrolled: 1-line block ×3, first 2 shown]
	ds_write2_b64 v11, v[2:3], v[16:17] offset0:204 offset1:221
	ds_write_b64 v11, v[92:93] offset:1904
	v_pk_add_f32 v[2:3], v[62:63], v[46:47]
	v_pk_add_f32 v[12:13], v[60:61], v[64:65] neg_lo:[0,1] neg_hi:[0,1]
	v_pk_fma_f32 v[2:3], v[2:3], 0.5, v[38:39] op_sel_hi:[1,0,1] neg_lo:[1,0,0] neg_hi:[1,0,0]
	v_pk_mul_f32 v[14:15], v[12:13], s[2:3] op_sel_hi:[1,0]
	v_pk_add_f32 v[16:17], v[62:63], v[46:47] neg_lo:[0,1] neg_hi:[0,1]
	v_pk_add_f32 v[20:21], v[60:61], v[62:63] neg_lo:[0,1] neg_hi:[0,1]
	;; [unrolled: 1-line block ×3, first 2 shown]
	v_pk_add_f32 v[30:31], v[38:39], v[60:61]
	v_pk_mul_f32 v[18:19], v[16:17], s[6:7] op_sel_hi:[1,0]
	v_pk_add_f32 v[20:21], v[20:21], v[22:23]
	v_pk_add_f32 v[22:23], v[2:3], v[14:15] op_sel:[0,1] op_sel_hi:[1,0] neg_lo:[0,1] neg_hi:[0,1]
	v_pk_add_f32 v[2:3], v[2:3], v[14:15] op_sel:[0,1] op_sel_hi:[1,0]
	v_pk_add_f32 v[30:31], v[30:31], v[62:63]
	v_pk_add_f32 v[2:3], v[2:3], v[18:19] op_sel:[0,1] op_sel_hi:[1,0]
	v_pk_add_f32 v[14:15], v[22:23], v[18:19] op_sel:[0,1] op_sel_hi:[1,0] neg_lo:[0,1] neg_hi:[0,1]
	v_pk_add_f32 v[30:31], v[30:31], v[46:47]
	v_mov_b32_e32 v18, v14
	v_mov_b32_e32 v19, v3
	v_accvgpr_read_b32 v11, a59
	v_pk_add_f32 v[30:31], v[30:31], v[64:65]
	v_pk_fma_f32 v[18:19], v[20:21], s[0:1], v[18:19] op_sel_hi:[1,0,1]
	v_add_u32_e32 v3, 0x400, v11
	ds_write2_b64 v3, v[30:31], v[18:19] offset0:127 offset1:144
	v_pk_add_f32 v[18:19], v[60:61], v[64:65]
	v_pk_add_f32 v[22:23], v[62:63], v[60:61] neg_lo:[0,1] neg_hi:[0,1]
	v_pk_fma_f32 v[18:19], v[18:19], 0.5, v[38:39] op_sel_hi:[1,0,1] neg_lo:[1,0,0] neg_hi:[1,0,0]
	v_pk_add_f32 v[24:25], v[46:47], v[64:65] neg_lo:[0,1] neg_hi:[0,1]
	v_pk_mul_f32 v[16:17], v[16:17], s[2:3] op_sel_hi:[1,0]
	v_pk_add_f32 v[22:23], v[22:23], v[24:25]
	v_pk_mul_f32 v[12:13], v[12:13], s[6:7] op_sel_hi:[1,0]
	v_pk_add_f32 v[24:25], v[18:19], v[16:17] op_sel:[0,1] op_sel_hi:[1,0]
	v_pk_add_f32 v[16:17], v[18:19], v[16:17] op_sel:[0,1] op_sel_hi:[1,0] neg_lo:[0,1] neg_hi:[0,1]
	v_add_u32_e32 v3, 0x800, v11
	v_pk_add_f32 v[16:17], v[16:17], v[12:13] op_sel:[0,1] op_sel_hi:[1,0]
	v_pk_add_f32 v[12:13], v[24:25], v[12:13] op_sel:[0,1] op_sel_hi:[1,0] neg_lo:[0,1] neg_hi:[0,1]
	v_mov_b32_e32 v19, v17
	v_mov_b32_e32 v18, v12
	;; [unrolled: 1-line block ×3, first 2 shown]
	v_pk_fma_f32 v[18:19], v[22:23], s[0:1], v[18:19] op_sel_hi:[1,0,1]
	v_pk_fma_f32 v[12:13], v[22:23], s[0:1], v[16:17] op_sel_hi:[1,0,1]
	ds_write2_b64 v3, v[18:19], v[12:13] offset0:33 offset1:50
	v_mov_b32_e32 v3, v15
	v_mov_b32_e32 v59, v27
	v_pk_fma_f32 v[2:3], v[20:21], s[0:1], v[2:3] op_sel_hi:[1,0,1]
	ds_write_b64 v11, v[2:3] offset:2584
	v_pk_add_f32 v[2:3], v[52:53], v[54:55]
	v_pk_add_f32 v[12:13], v[50:51], v[58:59] neg_lo:[0,1] neg_hi:[0,1]
	v_pk_fma_f32 v[2:3], v[2:3], 0.5, v[0:1] op_sel_hi:[1,0,1] neg_lo:[1,0,0] neg_hi:[1,0,0]
	v_pk_mul_f32 v[14:15], v[12:13], s[2:3] op_sel_hi:[1,0]
	v_pk_add_f32 v[16:17], v[52:53], v[54:55] neg_lo:[0,1] neg_hi:[0,1]
	v_pk_add_f32 v[20:21], v[50:51], v[52:53] neg_lo:[0,1] neg_hi:[0,1]
	;; [unrolled: 1-line block ×3, first 2 shown]
	v_pk_add_f32 v[26:27], v[0:1], v[50:51]
	v_pk_mul_f32 v[18:19], v[16:17], s[6:7] op_sel_hi:[1,0]
	v_pk_add_f32 v[20:21], v[20:21], v[22:23]
	v_pk_add_f32 v[22:23], v[2:3], v[14:15] op_sel:[0,1] op_sel_hi:[1,0] neg_lo:[0,1] neg_hi:[0,1]
	v_pk_add_f32 v[2:3], v[2:3], v[14:15] op_sel:[0,1] op_sel_hi:[1,0]
	v_pk_add_f32 v[26:27], v[26:27], v[52:53]
	v_pk_add_f32 v[2:3], v[2:3], v[18:19] op_sel:[0,1] op_sel_hi:[1,0]
	v_pk_add_f32 v[14:15], v[22:23], v[18:19] op_sel:[0,1] op_sel_hi:[1,0] neg_lo:[0,1] neg_hi:[0,1]
	v_pk_add_f32 v[26:27], v[26:27], v[54:55]
	v_mov_b32_e32 v18, v14
	v_mov_b32_e32 v19, v3
	v_accvgpr_read_b32 v11, a58
	v_pk_add_f32 v[26:27], v[26:27], v[58:59]
	v_pk_fma_f32 v[18:19], v[20:21], s[0:1], v[18:19] op_sel_hi:[1,0,1]
	v_add_u32_e32 v3, 0x800, v11
	ds_write2_b64 v3, v[26:27], v[18:19] offset0:84 offset1:101
	v_pk_add_f32 v[18:19], v[50:51], v[58:59]
	v_pk_add_f32 v[22:23], v[54:55], v[58:59] neg_lo:[0,1] neg_hi:[0,1]
	v_pk_fma_f32 v[0:1], v[18:19], 0.5, v[0:1] op_sel_hi:[1,0,1] neg_lo:[1,0,0] neg_hi:[1,0,0]
	v_pk_add_f32 v[18:19], v[52:53], v[50:51] neg_lo:[0,1] neg_hi:[0,1]
	v_pk_mul_f32 v[16:17], v[16:17], s[2:3] op_sel_hi:[1,0]
	v_pk_add_f32 v[18:19], v[18:19], v[22:23]
	v_pk_mul_f32 v[12:13], v[12:13], s[6:7] op_sel_hi:[1,0]
	v_pk_add_f32 v[22:23], v[0:1], v[16:17] op_sel:[0,1] op_sel_hi:[1,0]
	v_pk_add_f32 v[0:1], v[0:1], v[16:17] op_sel:[0,1] op_sel_hi:[1,0] neg_lo:[0,1] neg_hi:[0,1]
	v_accvgpr_read_b32 v62, a82
	v_pk_add_f32 v[0:1], v[0:1], v[12:13] op_sel:[0,1] op_sel_hi:[1,0]
	v_pk_add_f32 v[12:13], v[22:23], v[12:13] op_sel:[0,1] op_sel_hi:[1,0] neg_lo:[0,1] neg_hi:[0,1]
	v_mov_b32_e32 v17, v1
	v_mov_b32_e32 v16, v12
	;; [unrolled: 1-line block ×3, first 2 shown]
	v_pk_fma_f32 v[16:17], v[18:19], s[0:1], v[16:17] op_sel_hi:[1,0,1]
	v_pk_fma_f32 v[0:1], v[18:19], s[0:1], v[0:1] op_sel_hi:[1,0,1]
	ds_write2_b64 v3, v[16:17], v[0:1] offset0:118 offset1:135
	v_mov_b32_e32 v3, v15
	v_pk_fma_f32 v[0:1], v[20:21], s[0:1], v[2:3] op_sel_hi:[1,0,1]
	ds_write_b64 v11, v[0:1] offset:3264
	s_waitcnt lgkmcnt(0)
	; wave barrier
	s_waitcnt lgkmcnt(0)
	ds_read2_b64 v[0:3], v210 offset0:68 offset1:85
	ds_read2_b64 v[12:15], v210 offset1:17
	ds_read2_b64 v[16:19], v210 offset0:170 offset1:187
	ds_read2_b64 v[20:23], v210 offset0:238 offset1:255
	;; [unrolled: 1-line block ×3, first 2 shown]
	s_waitcnt lgkmcnt(4)
	v_pk_mul_f32 v[28:29], v[84:85], v[2:3]
	v_accvgpr_read_b32 v63, a83
	v_pk_fma_f32 v[36:37], v[204:205], v[2:3], v[28:29] op_sel:[0,0,1] op_sel_hi:[1,1,0]
	v_pk_fma_f32 v[2:3], v[204:205], v[2:3], v[28:29] op_sel:[0,0,1] op_sel_hi:[1,1,0] neg_lo:[0,0,1] neg_hi:[0,0,1]
	ds_read2_b64 v[28:31], v10 offset0:16 offset1:33
	v_mov_b32_e32 v37, v3
	s_waitcnt lgkmcnt(3)
	v_pk_mul_f32 v[2:3], v[86:87], v[16:17]
	v_accvgpr_read_b32 v64, a84
	v_pk_fma_f32 v[38:39], v[110:111], v[16:17], v[2:3] op_sel:[0,0,1] op_sel_hi:[1,1,0]
	v_pk_fma_f32 v[2:3], v[110:111], v[16:17], v[2:3] op_sel:[0,0,1] op_sel_hi:[1,1,0] neg_lo:[0,0,1] neg_hi:[0,0,1]
	v_accvgpr_read_b32 v65, a85
	v_mov_b32_e32 v39, v3
	s_waitcnt lgkmcnt(2)
	v_pk_mul_f32 v[2:3], v[80:81], v[22:23]
	v_pk_add_f32 v[74:75], v[36:37], v[38:39] neg_lo:[0,1] neg_hi:[0,1]
	v_pk_fma_f32 v[40:41], v[214:215], v[22:23], v[2:3] op_sel:[0,0,1] op_sel_hi:[1,1,0]
	v_pk_fma_f32 v[2:3], v[214:215], v[22:23], v[2:3] op_sel:[0,0,1] op_sel_hi:[1,1,0] neg_lo:[0,0,1] neg_hi:[0,0,1]
	v_mov_b32_e32 v5, s3
	v_mov_b32_e32 v41, v3
	s_waitcnt lgkmcnt(1)
	v_pk_mul_f32 v[2:3], v[82:83], v[24:25]
	v_pk_add_f32 v[70:71], v[38:39], v[40:41] neg_lo:[0,1] neg_hi:[0,1]
	v_pk_fma_f32 v[42:43], v[218:219], v[24:25], v[2:3] op_sel:[0,0,1] op_sel_hi:[1,1,0]
	v_pk_fma_f32 v[2:3], v[218:219], v[24:25], v[2:3] op_sel:[0,0,1] op_sel_hi:[1,1,0] neg_lo:[0,0,1] neg_hi:[0,0,1]
	ds_read2_b64 v[22:25], v210 offset0:102 offset1:119
	v_mov_b32_e32 v43, v3
	v_pk_add_f32 v[2:3], v[12:13], v[36:37]
	v_pk_mul_f32 v[72:73], v[70:71], s[6:7] op_sel_hi:[1,0]
	v_pk_add_f32 v[2:3], v[2:3], v[38:39]
	s_waitcnt lgkmcnt(0)
	v_pk_mul_f32 v[16:17], v[76:77], v[22:23]
	v_pk_add_f32 v[2:3], v[2:3], v[40:41]
	v_pk_fma_f32 v[44:45], v[130:131], v[22:23], v[16:17] op_sel:[0,0,1] op_sel_hi:[1,1,0]
	v_pk_fma_f32 v[16:17], v[130:131], v[22:23], v[16:17] op_sel:[0,0,1] op_sel_hi:[1,1,0] neg_lo:[0,0,1] neg_hi:[0,0,1]
	v_pk_add_f32 v[2:3], v[2:3], v[42:43]
	v_mov_b32_e32 v45, v17
	v_pk_mul_f32 v[16:17], v[78:79], v[18:19]
	v_pk_add_f32 v[76:77], v[42:43], v[40:41] neg_lo:[0,1] neg_hi:[0,1]
	v_pk_fma_f32 v[46:47], v[56:57], v[18:19], v[16:17] op_sel:[0,0,1] op_sel_hi:[1,1,0]
	v_pk_fma_f32 v[16:17], v[56:57], v[18:19], v[16:17] op_sel:[0,0,1] op_sel_hi:[1,1,0] neg_lo:[0,0,1] neg_hi:[0,0,1]
	v_accvgpr_read_b32 v54, a90
	v_mov_b32_e32 v47, v17
	v_accvgpr_read_b32 v16, a94
	v_accvgpr_read_b32 v17, a95
	v_pk_mul_f32 v[16:17], v[16:17], v[28:29]
	v_accvgpr_read_b32 v18, a96
	v_accvgpr_read_b32 v19, a97
	v_pk_fma_f32 v[48:49], v[134:135], v[28:29], v[16:17] op_sel:[0,0,1] op_sel_hi:[1,1,0]
	v_pk_fma_f32 v[16:17], v[134:135], v[28:29], v[16:17] op_sel:[0,0,1] op_sel_hi:[1,1,0] neg_lo:[0,0,1] neg_hi:[0,0,1]
	v_accvgpr_read_b32 v55, a91
	v_mov_b32_e32 v49, v17
	v_pk_mul_f32 v[16:17], v[18:19], v[26:27]
	v_pk_mul_f32 v[22:23], v[54:55], v[24:25]
	v_pk_fma_f32 v[50:51], v[224:225], v[26:27], v[16:17] op_sel:[0,0,1] op_sel_hi:[1,1,0]
	v_pk_fma_f32 v[16:17], v[224:225], v[26:27], v[16:17] op_sel:[0,0,1] op_sel_hi:[1,1,0] neg_lo:[0,0,1] neg_hi:[0,0,1]
	v_accvgpr_read_b32 v56, a92
	v_mov_b32_e32 v51, v17
	v_pk_add_f32 v[16:17], v[14:15], v[44:45]
	v_accvgpr_read_b32 v57, a93
	v_pk_add_f32 v[16:17], v[16:17], v[46:47]
	v_pk_fma_f32 v[54:55], v[178:179], v[24:25], v[22:23] op_sel:[0,0,1] op_sel_hi:[1,1,0]
	v_pk_add_f32 v[16:17], v[16:17], v[48:49]
	v_pk_fma_f32 v[22:23], v[178:179], v[24:25], v[22:23] op_sel:[0,0,1] op_sel_hi:[1,1,0] neg_lo:[0,0,1] neg_hi:[0,0,1]
	v_pk_add_f32 v[52:53], v[16:17], v[50:51]
	ds_read2_b64 v[16:19], v210 offset0:34 offset1:51
	ds_read2_b64 v[26:29], v210 offset0:204 offset1:221
	;; [unrolled: 1-line block ×3, first 2 shown]
	v_mov_b32_e32 v55, v23
	ds_write_b64 v210, v[2:3]
	ds_read_b64 v[2:3], v210 offset:3264
	s_waitcnt lgkmcnt(3)
	v_pk_mul_f32 v[22:23], v[56:57], v[26:27]
	v_pk_add_f32 v[74:75], v[74:75], v[76:77]
	v_pk_fma_f32 v[56:57], v[8:9], v[26:27], v[22:23] op_sel:[0,0,1] op_sel_hi:[1,1,0]
	v_pk_fma_f32 v[8:9], v[8:9], v[26:27], v[22:23] op_sel:[0,0,1] op_sel_hi:[1,1,0] neg_lo:[0,0,1] neg_hi:[0,0,1]
	v_accvgpr_read_b32 v22, a86
	v_accvgpr_read_b32 v23, a87
	v_mov_b32_e32 v57, v9
	v_pk_mul_f32 v[8:9], v[22:23], v[30:31]
	v_accvgpr_read_b32 v24, a88
	v_accvgpr_read_b32 v25, a89
	v_pk_fma_f32 v[26:27], v[184:185], v[30:31], v[8:9] op_sel:[0,0,1] op_sel_hi:[1,1,0]
	v_pk_fma_f32 v[8:9], v[184:185], v[30:31], v[8:9] op_sel:[0,0,1] op_sel_hi:[1,1,0] neg_lo:[0,0,1] neg_hi:[0,0,1]
	s_nop 0
	v_mov_b32_e32 v27, v9
	s_waitcnt lgkmcnt(2)
	v_pk_mul_f32 v[8:9], v[24:25], v[32:33]
	ds_read2_b64 v[22:25], v210 offset0:136 offset1:153
	v_pk_fma_f32 v[58:59], v[186:187], v[32:33], v[8:9] op_sel:[0,0,1] op_sel_hi:[1,1,0]
	v_pk_fma_f32 v[8:9], v[186:187], v[32:33], v[8:9] op_sel:[0,0,1] op_sel_hi:[1,1,0] neg_lo:[0,0,1] neg_hi:[0,0,1]
	ds_read2_b64 v[30:33], v10 offset0:50 offset1:67
	v_mov_b32_e32 v59, v9
	s_waitcnt lgkmcnt(1)
	v_pk_mul_f32 v[60:61], v[62:63], v[22:23]
	v_pk_add_f32 v[8:9], v[16:17], v[54:55]
	v_pk_fma_f32 v[62:63], v[152:153], v[22:23], v[60:61] op_sel:[0,0,1] op_sel_hi:[1,1,0]
	v_pk_fma_f32 v[22:23], v[152:153], v[22:23], v[60:61] op_sel:[0,0,1] op_sel_hi:[1,1,0] neg_lo:[0,0,1] neg_hi:[0,0,1]
	v_pk_add_f32 v[8:9], v[8:9], v[56:57]
	v_mov_b32_e32 v63, v23
	v_pk_mul_f32 v[22:23], v[64:65], v[28:29]
	v_accvgpr_read_b32 v64, a78
	v_pk_fma_f32 v[60:61], v[108:109], v[28:29], v[22:23] op_sel:[0,0,1] op_sel_hi:[1,1,0]
	v_pk_fma_f32 v[22:23], v[108:109], v[28:29], v[22:23] op_sel:[0,0,1] op_sel_hi:[1,1,0] neg_lo:[0,0,1] neg_hi:[0,0,1]
	v_accvgpr_read_b32 v65, a79
	v_mov_b32_e32 v61, v23
	s_waitcnt lgkmcnt(0)
	v_pk_mul_f32 v[22:23], v[64:65], v[30:31]
	v_accvgpr_read_b32 v66, a80
	v_accvgpr_read_b32 v67, a81
	v_pk_fma_f32 v[28:29], v[240:241], v[30:31], v[22:23] op_sel:[0,0,1] op_sel_hi:[1,1,0]
	v_pk_fma_f32 v[22:23], v[240:241], v[30:31], v[22:23] op_sel:[0,0,1] op_sel_hi:[1,1,0] neg_lo:[0,0,1] neg_hi:[0,0,1]
	v_accvgpr_read_b32 v64, a130
	v_mov_b32_e32 v29, v23
	v_pk_mul_f32 v[22:23], v[66:67], v[34:35]
	v_accvgpr_read_b32 v65, a131
	v_accvgpr_read_b32 v66, a132
	v_pk_fma_f32 v[30:31], v[64:65], v[34:35], v[22:23] op_sel:[0,0,1] op_sel_hi:[1,1,0]
	v_pk_fma_f32 v[22:23], v[64:65], v[34:35], v[22:23] op_sel:[0,0,1] op_sel_hi:[1,1,0] neg_lo:[0,0,1] neg_hi:[0,0,1]
	v_pk_mul_f32 v[34:35], v[116:117], v[24:25]
	v_accvgpr_read_b32 v67, a133
	v_pk_fma_f32 v[64:65], v[66:67], v[24:25], v[34:35] op_sel:[0,0,1] op_sel_hi:[1,1,0]
	v_pk_fma_f32 v[24:25], v[66:67], v[24:25], v[34:35] op_sel:[0,0,1] op_sel_hi:[1,1,0] neg_lo:[0,0,1] neg_hi:[0,0,1]
	v_accvgpr_read_b32 v66, a128
	v_mov_b32_e32 v65, v25
	v_pk_mul_f32 v[24:25], v[118:119], v[20:21]
	v_accvgpr_read_b32 v67, a129
	v_pk_fma_f32 v[34:35], v[166:167], v[20:21], v[24:25] op_sel:[0,0,1] op_sel_hi:[1,1,0]
	v_pk_fma_f32 v[20:21], v[166:167], v[20:21], v[24:25] op_sel:[0,0,1] op_sel_hi:[1,1,0] neg_lo:[0,0,1] neg_hi:[0,0,1]
	v_pk_add_f32 v[8:9], v[8:9], v[26:27]
	v_mov_b32_e32 v35, v21
	v_pk_mul_f32 v[20:21], v[112:113], v[32:33]
	v_pk_add_f32 v[8:9], v[8:9], v[58:59]
	v_pk_fma_f32 v[24:25], v[66:67], v[32:33], v[20:21] op_sel:[0,0,1] op_sel_hi:[1,1,0]
	v_pk_fma_f32 v[20:21], v[66:67], v[32:33], v[20:21] op_sel:[0,0,1] op_sel_hi:[1,1,0] neg_lo:[0,0,1] neg_hi:[0,0,1]
	v_pk_add_f32 v[66:67], v[36:37], v[42:43] neg_lo:[0,1] neg_hi:[0,1]
	v_mov_b32_e32 v25, v21
	v_pk_mul_f32 v[20:21], v[114:115], v[2:3]
	v_pk_mul_f32 v[68:69], v[66:67], s[2:3] op_sel_hi:[1,0]
	v_pk_fma_f32 v[32:33], v[132:133], v[2:3], v[20:21] op_sel:[0,0,1] op_sel_hi:[1,1,0]
	v_pk_fma_f32 v[2:3], v[132:133], v[2:3], v[20:21] op_sel:[0,0,1] op_sel_hi:[1,1,0] neg_lo:[0,0,1] neg_hi:[0,0,1]
	v_pk_add_f32 v[20:21], v[38:39], v[40:41]
	v_mov_b32_e32 v31, v23
	v_pk_fma_f32 v[20:21], v[20:21], 0.5, v[12:13] op_sel_hi:[1,0,1] neg_lo:[1,0,0] neg_hi:[1,0,0]
	v_pk_add_f32 v[22:23], v[18:19], v[62:63]
	v_pk_add_f32 v[76:77], v[20:21], v[68:69] op_sel:[0,1] op_sel_hi:[1,0] neg_lo:[0,1] neg_hi:[0,1]
	v_pk_add_f32 v[20:21], v[20:21], v[68:69] op_sel:[0,1] op_sel_hi:[1,0]
	v_pk_add_f32 v[68:69], v[76:77], v[72:73] op_sel:[0,1] op_sel_hi:[1,0] neg_lo:[0,1] neg_hi:[0,1]
	v_pk_add_f32 v[76:77], v[36:37], v[42:43]
	v_pk_add_f32 v[36:37], v[38:39], v[36:37] neg_lo:[0,1] neg_hi:[0,1]
	v_pk_add_f32 v[38:39], v[40:41], v[42:43] neg_lo:[0,1] neg_hi:[0,1]
	v_pk_fma_f32 v[12:13], v[76:77], 0.5, v[12:13] op_sel_hi:[1,0,1] neg_lo:[1,0,0] neg_hi:[1,0,0]
	v_pk_add_f32 v[36:37], v[36:37], v[38:39]
	v_pk_mul_f32 v[38:39], v[70:71], s[2:3] op_sel_hi:[1,0]
	v_pk_mul_f32 v[40:41], v[66:67], s[6:7] op_sel_hi:[1,0]
	v_pk_add_f32 v[42:43], v[12:13], v[38:39] op_sel:[0,1] op_sel_hi:[1,0]
	v_pk_add_f32 v[12:13], v[12:13], v[38:39] op_sel:[0,1] op_sel_hi:[1,0] neg_lo:[0,1] neg_hi:[0,1]
	v_pk_add_f32 v[38:39], v[42:43], v[40:41] op_sel:[0,1] op_sel_hi:[1,0] neg_lo:[0,1] neg_hi:[0,1]
	v_pk_add_f32 v[12:13], v[12:13], v[40:41] op_sel:[0,1] op_sel_hi:[1,0]
	v_pk_add_f32 v[20:21], v[20:21], v[72:73] op_sel:[0,1] op_sel_hi:[1,0]
	v_mov_b32_e32 v40, v38
	v_mov_b32_e32 v41, v13
	;; [unrolled: 1-line block ×5, first 2 shown]
	v_pk_fma_f32 v[40:41], v[36:37], s[0:1], v[40:41] op_sel_hi:[1,0,1]
	v_pk_fma_f32 v[12:13], v[36:37], s[0:1], v[12:13] op_sel_hi:[1,0,1]
	v_mov_b32_e32 v21, v69
	v_pk_add_f32 v[36:37], v[46:47], v[48:49]
	v_pk_add_f32 v[38:39], v[44:45], v[50:51] neg_lo:[0,1] neg_hi:[0,1]
	v_pk_fma_f32 v[72:73], v[74:75], s[0:1], v[72:73] op_sel_hi:[1,0,1]
	v_pk_fma_f32 v[20:21], v[74:75], s[0:1], v[20:21] op_sel_hi:[1,0,1]
	v_pk_fma_f32 v[36:37], v[36:37], 0.5, v[14:15] op_sel_hi:[1,0,1] neg_lo:[1,0,0] neg_hi:[1,0,0]
	v_pk_mul_f32 v[42:43], v[38:39], s[2:3] op_sel_hi:[1,0]
	v_pk_add_f32 v[66:67], v[46:47], v[48:49] neg_lo:[0,1] neg_hi:[0,1]
	v_pk_add_f32 v[70:71], v[44:45], v[46:47] neg_lo:[0,1] neg_hi:[0,1]
	;; [unrolled: 1-line block ×3, first 2 shown]
	v_pk_mul_f32 v[68:69], v[66:67], s[6:7] op_sel_hi:[1,0]
	v_pk_add_f32 v[70:71], v[70:71], v[74:75]
	v_pk_add_f32 v[74:75], v[36:37], v[42:43] op_sel:[0,1] op_sel_hi:[1,0] neg_lo:[0,1] neg_hi:[0,1]
	v_pk_add_f32 v[36:37], v[36:37], v[42:43] op_sel:[0,1] op_sel_hi:[1,0]
	v_pk_add_f32 v[42:43], v[74:75], v[68:69] op_sel:[0,1] op_sel_hi:[1,0] neg_lo:[0,1] neg_hi:[0,1]
	v_pk_add_f32 v[36:37], v[36:37], v[68:69] op_sel:[0,1] op_sel_hi:[1,0]
	v_mov_b32_e32 v68, v42
	v_mov_b32_e32 v69, v37
	v_pk_fma_f32 v[68:69], v[70:71], s[0:1], v[68:69] op_sel_hi:[1,0,1]
	v_accvgpr_read_b32 v42, a1
	ds_write2_b64 v42, v[72:73], v[68:69] offset0:85 offset1:102
	v_pk_add_f32 v[68:69], v[44:45], v[50:51]
	v_pk_add_f32 v[44:45], v[46:47], v[44:45] neg_lo:[0,1] neg_hi:[0,1]
	v_pk_add_f32 v[46:47], v[48:49], v[50:51] neg_lo:[0,1] neg_hi:[0,1]
	v_pk_fma_f32 v[14:15], v[68:69], 0.5, v[14:15] op_sel_hi:[1,0,1] neg_lo:[1,0,0] neg_hi:[1,0,0]
	v_pk_add_f32 v[44:45], v[44:45], v[46:47]
	v_pk_mul_f32 v[46:47], v[66:67], s[2:3] op_sel_hi:[1,0]
	v_pk_mul_f32 v[38:39], v[38:39], s[6:7] op_sel_hi:[1,0]
	v_pk_add_f32 v[48:49], v[14:15], v[46:47] op_sel:[0,1] op_sel_hi:[1,0]
	v_pk_add_f32 v[14:15], v[14:15], v[46:47] op_sel:[0,1] op_sel_hi:[1,0] neg_lo:[0,1] neg_hi:[0,1]
	v_add_u32_e32 v11, 0x400, v42
	v_pk_add_f32 v[14:15], v[14:15], v[38:39] op_sel:[0,1] op_sel_hi:[1,0]
	v_pk_add_f32 v[38:39], v[48:49], v[38:39] op_sel:[0,1] op_sel_hi:[1,0] neg_lo:[0,1] neg_hi:[0,1]
	v_mov_b32_e32 v47, v15
	v_mov_b32_e32 v15, v39
	;; [unrolled: 1-line block ×3, first 2 shown]
	v_pk_fma_f32 v[14:15], v[44:45], s[0:1], v[14:15] op_sel_hi:[1,0,1]
	v_mov_b32_e32 v37, v43
	v_pk_fma_f32 v[46:47], v[44:45], s[0:1], v[46:47] op_sel_hi:[1,0,1]
	ds_write2_b64 v11, v[12:13], v[14:15] offset0:127 offset1:144
	v_pk_fma_f32 v[12:13], v[70:71], s[0:1], v[36:37] op_sel_hi:[1,0,1]
	v_add_u32_e32 v11, 0x800, v42
	ds_write2_b64 v42, v[40:41], v[46:47] offset0:170 offset1:187
	ds_write2_b64 v11, v[20:21], v[12:13] offset0:84 offset1:101
	;; [unrolled: 1-line block ×3, first 2 shown]
	v_pk_add_f32 v[8:9], v[56:57], v[26:27]
	v_pk_add_f32 v[12:13], v[54:55], v[58:59] neg_lo:[0,1] neg_hi:[0,1]
	v_pk_fma_f32 v[8:9], v[8:9], 0.5, v[16:17] op_sel_hi:[1,0,1] neg_lo:[1,0,0] neg_hi:[1,0,0]
	v_pk_mul_f32 v[14:15], v[12:13], s[2:3] op_sel_hi:[1,0]
	v_pk_add_f32 v[20:21], v[56:57], v[26:27] neg_lo:[0,1] neg_hi:[0,1]
	v_pk_add_f32 v[38:39], v[54:55], v[56:57] neg_lo:[0,1] neg_hi:[0,1]
	;; [unrolled: 1-line block ×3, first 2 shown]
	v_pk_mul_f32 v[36:37], v[20:21], s[6:7] op_sel_hi:[1,0]
	v_pk_add_f32 v[38:39], v[38:39], v[40:41]
	v_pk_add_f32 v[40:41], v[8:9], v[14:15] op_sel:[0,1] op_sel_hi:[1,0] neg_lo:[0,1] neg_hi:[0,1]
	v_pk_add_f32 v[8:9], v[8:9], v[14:15] op_sel:[0,1] op_sel_hi:[1,0]
	v_pk_add_f32 v[14:15], v[40:41], v[36:37] op_sel:[0,1] op_sel_hi:[1,0] neg_lo:[0,1] neg_hi:[0,1]
	v_pk_add_f32 v[40:41], v[54:55], v[58:59]
	v_pk_add_f32 v[26:27], v[26:27], v[58:59] neg_lo:[0,1] neg_hi:[0,1]
	v_pk_fma_f32 v[16:17], v[40:41], 0.5, v[16:17] op_sel_hi:[1,0,1] neg_lo:[1,0,0] neg_hi:[1,0,0]
	v_pk_add_f32 v[40:41], v[56:57], v[54:55] neg_lo:[0,1] neg_hi:[0,1]
	v_pk_mul_f32 v[20:21], v[20:21], s[2:3] op_sel_hi:[1,0]
	v_pk_add_f32 v[26:27], v[40:41], v[26:27]
	v_pk_mul_f32 v[12:13], v[12:13], s[6:7] op_sel_hi:[1,0]
	v_pk_add_f32 v[40:41], v[16:17], v[20:21] op_sel:[0,1] op_sel_hi:[1,0]
	v_pk_add_f32 v[16:17], v[16:17], v[20:21] op_sel:[0,1] op_sel_hi:[1,0] neg_lo:[0,1] neg_hi:[0,1]
	v_pk_add_f32 v[8:9], v[8:9], v[36:37] op_sel:[0,1] op_sel_hi:[1,0]
	v_pk_add_f32 v[16:17], v[16:17], v[12:13] op_sel:[0,1] op_sel_hi:[1,0]
	v_pk_add_f32 v[12:13], v[40:41], v[12:13] op_sel:[0,1] op_sel_hi:[1,0] neg_lo:[0,1] neg_hi:[0,1]
	v_pk_add_f32 v[22:23], v[22:23], v[60:61]
	v_mov_b32_e32 v36, v14
	v_mov_b32_e32 v37, v9
	;; [unrolled: 1-line block ×6, first 2 shown]
	v_pk_add_f32 v[22:23], v[22:23], v[28:29]
	v_pk_fma_f32 v[36:37], v[38:39], s[0:1], v[36:37] op_sel_hi:[1,0,1]
	v_pk_fma_f32 v[20:21], v[26:27], s[0:1], v[20:21] op_sel_hi:[1,0,1]
	;; [unrolled: 1-line block ×4, first 2 shown]
	v_add_u32_e32 v11, 0x400, v121
	v_pk_add_f32 v[22:23], v[22:23], v[30:31]
	ds_write2_b64 v121, v[36:37], v[20:21] offset0:85 offset1:170
	ds_write2_b64 v11, v[12:13], v[8:9] offset0:127 offset1:212
	ds_write_b64 v42, v[22:23] offset:408
	v_pk_add_f32 v[8:9], v[60:61], v[28:29]
	v_pk_add_f32 v[12:13], v[62:63], v[30:31] neg_lo:[0,1] neg_hi:[0,1]
	v_pk_fma_f32 v[8:9], v[8:9], 0.5, v[18:19] op_sel_hi:[1,0,1] neg_lo:[1,0,0] neg_hi:[1,0,0]
	v_pk_mul_f32 v[14:15], v[12:13], s[2:3] op_sel_hi:[1,0]
	v_pk_add_f32 v[16:17], v[60:61], v[28:29] neg_lo:[0,1] neg_hi:[0,1]
	v_pk_add_f32 v[22:23], v[62:63], v[60:61] neg_lo:[0,1] neg_hi:[0,1]
	;; [unrolled: 1-line block ×3, first 2 shown]
	v_pk_mul_f32 v[20:21], v[16:17], s[6:7] op_sel_hi:[1,0]
	v_pk_add_f32 v[22:23], v[22:23], v[26:27]
	v_pk_add_f32 v[26:27], v[8:9], v[14:15] op_sel:[0,1] op_sel_hi:[1,0] neg_lo:[0,1] neg_hi:[0,1]
	v_pk_add_f32 v[8:9], v[8:9], v[14:15] op_sel:[0,1] op_sel_hi:[1,0]
	v_pk_add_f32 v[14:15], v[26:27], v[20:21] op_sel:[0,1] op_sel_hi:[1,0] neg_lo:[0,1] neg_hi:[0,1]
	v_pk_add_f32 v[26:27], v[62:63], v[30:31]
	v_pk_add_f32 v[28:29], v[28:29], v[30:31] neg_lo:[0,1] neg_hi:[0,1]
	v_pk_fma_f32 v[18:19], v[26:27], 0.5, v[18:19] op_sel_hi:[1,0,1] neg_lo:[1,0,0] neg_hi:[1,0,0]
	v_pk_add_f32 v[26:27], v[60:61], v[62:63] neg_lo:[0,1] neg_hi:[0,1]
	v_pk_mul_f32 v[16:17], v[16:17], s[2:3] op_sel_hi:[1,0]
	v_mov_b32_e32 v33, v3
	v_pk_add_f32 v[2:3], v[0:1], v[64:65]
	v_pk_add_f32 v[26:27], v[26:27], v[28:29]
	v_pk_mul_f32 v[12:13], v[12:13], s[6:7] op_sel_hi:[1,0]
	v_pk_add_f32 v[28:29], v[18:19], v[16:17] op_sel:[0,1] op_sel_hi:[1,0]
	v_pk_add_f32 v[16:17], v[18:19], v[16:17] op_sel:[0,1] op_sel_hi:[1,0] neg_lo:[0,1] neg_hi:[0,1]
	v_pk_add_f32 v[2:3], v[2:3], v[34:35]
	v_pk_add_f32 v[8:9], v[8:9], v[20:21] op_sel:[0,1] op_sel_hi:[1,0]
	v_pk_add_f32 v[16:17], v[16:17], v[12:13] op_sel:[0,1] op_sel_hi:[1,0]
	v_pk_add_f32 v[12:13], v[28:29], v[12:13] op_sel:[0,1] op_sel_hi:[1,0] neg_lo:[0,1] neg_hi:[0,1]
	v_pk_add_f32 v[2:3], v[2:3], v[24:25]
	v_mov_b32_e32 v20, v14
	v_mov_b32_e32 v21, v9
	;; [unrolled: 1-line block ×6, first 2 shown]
	v_pk_add_f32 v[2:3], v[2:3], v[32:33]
	v_pk_fma_f32 v[20:21], v[22:23], s[0:1], v[20:21] op_sel_hi:[1,0,1]
	v_pk_fma_f32 v[18:19], v[26:27], s[0:1], v[18:19] op_sel_hi:[1,0,1]
	;; [unrolled: 1-line block ×4, first 2 shown]
	v_add_u32_e32 v11, 0x400, v120
	ds_write2_b64 v120, v[20:21], v[18:19] offset0:85 offset1:170
	ds_write2_b64 v11, v[12:13], v[8:9] offset0:127 offset1:212
	ds_write_b64 v42, v[2:3] offset:544
	v_pk_add_f32 v[2:3], v[34:35], v[24:25]
	v_pk_add_f32 v[8:9], v[64:65], v[32:33] neg_lo:[0,1] neg_hi:[0,1]
	v_pk_fma_f32 v[2:3], v[2:3], 0.5, v[0:1] op_sel_hi:[1,0,1] neg_lo:[1,0,0] neg_hi:[1,0,0]
	v_pk_mul_f32 v[12:13], v[8:9], s[2:3] op_sel_hi:[1,0]
	v_pk_add_f32 v[14:15], v[34:35], v[24:25] neg_lo:[0,1] neg_hi:[0,1]
	v_pk_add_f32 v[18:19], v[64:65], v[34:35] neg_lo:[0,1] neg_hi:[0,1]
	;; [unrolled: 1-line block ×3, first 2 shown]
	v_pk_mul_f32 v[16:17], v[14:15], s[6:7] op_sel_hi:[1,0]
	v_pk_add_f32 v[18:19], v[18:19], v[20:21]
	v_pk_add_f32 v[20:21], v[2:3], v[12:13] op_sel:[0,1] op_sel_hi:[1,0] neg_lo:[0,1] neg_hi:[0,1]
	v_pk_add_f32 v[2:3], v[2:3], v[12:13] op_sel:[0,1] op_sel_hi:[1,0]
	v_pk_add_f32 v[12:13], v[20:21], v[16:17] op_sel:[0,1] op_sel_hi:[1,0] neg_lo:[0,1] neg_hi:[0,1]
	v_pk_add_f32 v[20:21], v[64:65], v[32:33]
	v_pk_add_f32 v[22:23], v[24:25], v[32:33] neg_lo:[0,1] neg_hi:[0,1]
	v_pk_fma_f32 v[0:1], v[20:21], 0.5, v[0:1] op_sel_hi:[1,0,1] neg_lo:[1,0,0] neg_hi:[1,0,0]
	v_pk_add_f32 v[20:21], v[34:35], v[64:65] neg_lo:[0,1] neg_hi:[0,1]
	v_pk_mul_f32 v[14:15], v[14:15], s[2:3] op_sel_hi:[1,0]
	v_pk_add_f32 v[20:21], v[20:21], v[22:23]
	v_pk_mul_f32 v[8:9], v[8:9], s[6:7] op_sel_hi:[1,0]
	v_pk_add_f32 v[22:23], v[0:1], v[14:15] op_sel:[0,1] op_sel_hi:[1,0]
	v_pk_add_f32 v[0:1], v[0:1], v[14:15] op_sel:[0,1] op_sel_hi:[1,0] neg_lo:[0,1] neg_hi:[0,1]
	v_pk_add_f32 v[2:3], v[2:3], v[16:17] op_sel:[0,1] op_sel_hi:[1,0]
	v_pk_add_f32 v[0:1], v[0:1], v[8:9] op_sel:[0,1] op_sel_hi:[1,0]
	v_pk_add_f32 v[8:9], v[22:23], v[8:9] op_sel:[0,1] op_sel_hi:[1,0] neg_lo:[0,1] neg_hi:[0,1]
	v_mov_b32_e32 v16, v12
	v_mov_b32_e32 v17, v3
	v_mov_b32_e32 v14, v8
	v_mov_b32_e32 v15, v1
	v_mov_b32_e32 v1, v9
	v_mov_b32_e32 v3, v13
	v_pk_fma_f32 v[16:17], v[18:19], s[0:1], v[16:17] op_sel_hi:[1,0,1]
	v_pk_fma_f32 v[14:15], v[20:21], s[0:1], v[14:15] op_sel_hi:[1,0,1]
	;; [unrolled: 1-line block ×4, first 2 shown]
	v_add_u32_e32 v8, 0x400, v107
	ds_write2_b64 v107, v[16:17], v[14:15] offset0:85 offset1:170
	ds_write2_b64 v8, v[0:1], v[2:3] offset0:127 offset1:212
	s_waitcnt lgkmcnt(0)
	; wave barrier
	s_waitcnt lgkmcnt(0)
	ds_read2_b64 v[0:3], v210 offset1:25
	v_mov_b32_e32 v8, v7
	v_accvgpr_read_b32 v12, a38
	v_mad_u64_u32 v[8:9], s[0:1], s7, v106, v[8:9]
	v_accvgpr_read_b32 v13, a39
	v_mov_b32_e32 v7, v8
	s_waitcnt lgkmcnt(0)
	v_mul_f32_e32 v8, v13, v1
	v_fmac_f32_e32 v8, v12, v0
	v_mul_f32_e32 v0, v13, v0
	s_mov_b32 s0, 0xace01346
	v_fma_f32 v0, v12, v1, -v0
	v_cvt_f64_f32_e32 v[8:9], v8
	s_mov_b32 s1, 0x3f634679
	v_cvt_f64_f32_e32 v[0:1], v0
	v_accvgpr_read_b32 v18, a0
	v_mul_f64 v[8:9], v[8:9], s[0:1]
	v_mul_f64 v[0:1], v[0:1], s[0:1]
	v_mad_u64_u32 v[12:13], s[2:3], s4, v18, 0
	v_cvt_f32_f64_e32 v8, v[8:9]
	v_cvt_f32_f64_e32 v9, v[0:1]
	v_mov_b32_e32 v0, v13
	v_mad_u64_u32 v[0:1], s[2:3], s5, v18, v[0:1]
	v_mov_b32_e32 v13, v0
	v_lshl_add_u64 v[0:1], v[6:7], 3, v[4:5]
	v_lshl_add_u64 v[6:7], v[12:13], 3, v[0:1]
	v_accvgpr_read_b32 v12, a36
	v_accvgpr_read_b32 v13, a37
	v_mul_f32_e32 v4, v13, v3
	v_fmac_f32_e32 v4, v12, v2
	v_mul_f32_e32 v2, v13, v2
	v_fma_f32 v2, v12, v3, -v2
	v_cvt_f64_f32_e32 v[4:5], v4
	v_cvt_f64_f32_e32 v[2:3], v2
	v_mul_f64 v[4:5], v[4:5], s[0:1]
	v_mul_f64 v[2:3], v[2:3], s[0:1]
	global_store_dwordx2 v[6:7], v[8:9], off
	v_cvt_f32_f64_e32 v8, v[4:5]
	v_cvt_f32_f64_e32 v9, v[2:3]
	ds_read2_b64 v[2:5], v210 offset0:50 offset1:75
	s_mul_i32 s2, s5, 25
	s_mul_hi_u32 s3, s4, 25
	s_add_i32 s3, s3, s2
	s_mul_i32 s2, s4, 25
	s_lshl_b64 s[2:3], s[2:3], 3
	v_accvgpr_read_b32 v12, a34
	v_lshl_add_u64 v[6:7], v[6:7], 0, s[2:3]
	v_accvgpr_read_b32 v13, a35
	global_store_dwordx2 v[6:7], v[8:9], off
	s_waitcnt lgkmcnt(0)
	v_mul_f32_e32 v8, v13, v3
	v_fmac_f32_e32 v8, v12, v2
	v_mul_f32_e32 v2, v13, v2
	v_fma_f32 v2, v12, v3, -v2
	v_cvt_f64_f32_e32 v[8:9], v8
	v_cvt_f64_f32_e32 v[2:3], v2
	v_accvgpr_read_b32 v12, a32
	v_mul_f64 v[8:9], v[8:9], s[0:1]
	v_mul_f64 v[2:3], v[2:3], s[0:1]
	v_accvgpr_read_b32 v13, a33
	v_cvt_f32_f64_e32 v8, v[8:9]
	v_cvt_f32_f64_e32 v9, v[2:3]
	v_mul_f32_e32 v2, v13, v5
	v_fmac_f32_e32 v2, v12, v4
	v_cvt_f64_f32_e32 v[2:3], v2
	v_lshl_add_u64 v[6:7], v[6:7], 0, s[2:3]
	v_mul_f64 v[2:3], v[2:3], s[0:1]
	global_store_dwordx2 v[6:7], v[8:9], off
	v_cvt_f32_f64_e32 v8, v[2:3]
	v_mul_f32_e32 v2, v13, v4
	v_fma_f32 v2, v12, v5, -v2
	v_cvt_f64_f32_e32 v[12:13], v2
	ds_read2_b64 v[2:5], v210 offset0:100 offset1:125
	v_mul_f64 v[12:13], v[12:13], s[0:1]
	v_cvt_f32_f64_e32 v9, v[12:13]
	v_accvgpr_read_b32 v12, a30
	v_lshl_add_u64 v[6:7], v[6:7], 0, s[2:3]
	v_accvgpr_read_b32 v13, a31
	global_store_dwordx2 v[6:7], v[8:9], off
	s_waitcnt lgkmcnt(0)
	v_mul_f32_e32 v8, v13, v3
	v_fmac_f32_e32 v8, v12, v2
	v_mul_f32_e32 v2, v13, v2
	v_fma_f32 v2, v12, v3, -v2
	v_cvt_f64_f32_e32 v[8:9], v8
	v_cvt_f64_f32_e32 v[2:3], v2
	v_accvgpr_read_b32 v12, a26
	v_mul_f64 v[8:9], v[8:9], s[0:1]
	v_mul_f64 v[2:3], v[2:3], s[0:1]
	v_accvgpr_read_b32 v13, a27
	v_cvt_f32_f64_e32 v8, v[8:9]
	v_cvt_f32_f64_e32 v9, v[2:3]
	v_mul_f32_e32 v2, v13, v5
	v_fmac_f32_e32 v2, v12, v4
	v_cvt_f64_f32_e32 v[2:3], v2
	v_lshl_add_u64 v[6:7], v[6:7], 0, s[2:3]
	v_mul_f64 v[2:3], v[2:3], s[0:1]
	global_store_dwordx2 v[6:7], v[8:9], off
	v_cvt_f32_f64_e32 v8, v[2:3]
	v_mul_f32_e32 v2, v13, v4
	v_fma_f32 v2, v12, v5, -v2
	v_cvt_f64_f32_e32 v[12:13], v2
	ds_read2_b64 v[2:5], v210 offset0:150 offset1:175
	v_mul_f64 v[12:13], v[12:13], s[0:1]
	v_cvt_f32_f64_e32 v9, v[12:13]
	;; [unrolled: 30-line block ×3, first 2 shown]
	v_accvgpr_read_b32 v12, a20
	v_lshl_add_u64 v[6:7], v[6:7], 0, s[2:3]
	v_accvgpr_read_b32 v13, a21
	global_store_dwordx2 v[6:7], v[8:9], off
	s_waitcnt lgkmcnt(0)
	v_mul_f32_e32 v8, v13, v3
	v_fmac_f32_e32 v8, v12, v2
	v_mul_f32_e32 v2, v13, v2
	v_fma_f32 v2, v12, v3, -v2
	v_cvt_f64_f32_e32 v[8:9], v8
	v_cvt_f64_f32_e32 v[2:3], v2
	v_mul_f64 v[8:9], v[8:9], s[0:1]
	v_mul_f64 v[2:3], v[2:3], s[0:1]
	v_cvt_f32_f64_e32 v8, v[8:9]
	v_cvt_f32_f64_e32 v9, v[2:3]
	v_lshl_add_u64 v[2:3], v[6:7], 0, s[2:3]
	global_store_dwordx2 v[2:3], v[8:9], off
	v_accvgpr_read_b32 v8, a18
	v_accvgpr_read_b32 v9, a19
	v_mul_f32_e32 v6, v9, v5
	v_fmac_f32_e32 v6, v8, v4
	v_mul_f32_e32 v4, v9, v4
	v_cvt_f64_f32_e32 v[6:7], v6
	v_fma_f32 v4, v8, v5, -v4
	v_mul_f64 v[6:7], v[6:7], s[0:1]
	v_cvt_f64_f32_e32 v[14:15], v4
	v_add_u32_e32 v4, 0x400, v210
	v_cvt_f32_f64_e32 v12, v[6:7]
	ds_read2_b64 v[6:9], v4 offset0:122 offset1:147
	v_mul_f64 v[14:15], v[14:15], s[0:1]
	v_cvt_f32_f64_e32 v13, v[14:15]
	v_accvgpr_read_b32 v14, a16
	v_accvgpr_read_b32 v15, a17
	s_waitcnt lgkmcnt(0)
	v_mul_f32_e32 v5, v15, v7
	v_lshl_add_u64 v[2:3], v[2:3], 0, s[2:3]
	v_fmac_f32_e32 v5, v14, v6
	global_store_dwordx2 v[2:3], v[12:13], off
	v_cvt_f64_f32_e32 v[12:13], v5
	v_mul_f32_e32 v5, v15, v6
	v_fma_f32 v5, v14, v7, -v5
	v_accvgpr_read_b32 v14, a14
	v_accvgpr_read_b32 v15, a15
	v_cvt_f64_f32_e32 v[6:7], v5
	v_mul_f32_e32 v5, v15, v9
	v_mul_f64 v[12:13], v[12:13], s[0:1]
	v_mul_f64 v[6:7], v[6:7], s[0:1]
	v_fmac_f32_e32 v5, v14, v8
	v_cvt_f32_f64_e32 v12, v[12:13]
	v_cvt_f32_f64_e32 v13, v[6:7]
	v_cvt_f64_f32_e32 v[6:7], v5
	v_lshl_add_u64 v[2:3], v[2:3], 0, s[2:3]
	v_mul_f64 v[6:7], v[6:7], s[0:1]
	v_mul_f32_e32 v5, v15, v8
	global_store_dwordx2 v[2:3], v[12:13], off
	v_cvt_f32_f64_e32 v12, v[6:7]
	v_fma_f32 v5, v14, v9, -v5
	ds_read2_b64 v[6:9], v10 offset0:44 offset1:69
	v_cvt_f64_f32_e32 v[14:15], v5
	v_mul_f64 v[14:15], v[14:15], s[0:1]
	v_cvt_f32_f64_e32 v13, v[14:15]
	v_accvgpr_read_b32 v15, a13
	v_accvgpr_read_b32 v14, a12
	s_waitcnt lgkmcnt(0)
	v_mul_f32_e32 v5, v15, v7
	v_lshl_add_u64 v[2:3], v[2:3], 0, s[2:3]
	v_fmac_f32_e32 v5, v14, v6
	global_store_dwordx2 v[2:3], v[12:13], off
	v_cvt_f64_f32_e32 v[12:13], v5
	v_mul_f32_e32 v5, v15, v6
	v_fma_f32 v5, v14, v7, -v5
	v_accvgpr_read_b32 v15, a11
	v_cvt_f64_f32_e32 v[6:7], v5
	v_accvgpr_read_b32 v14, a10
	v_mul_f32_e32 v5, v15, v9
	v_mul_f64 v[12:13], v[12:13], s[0:1]
	v_mul_f64 v[6:7], v[6:7], s[0:1]
	v_fmac_f32_e32 v5, v14, v8
	v_cvt_f32_f64_e32 v12, v[12:13]
	v_cvt_f32_f64_e32 v13, v[6:7]
	v_cvt_f64_f32_e32 v[6:7], v5
	v_lshl_add_u64 v[2:3], v[2:3], 0, s[2:3]
	v_mul_f64 v[6:7], v[6:7], s[0:1]
	v_mul_f32_e32 v5, v15, v8
	global_store_dwordx2 v[2:3], v[12:13], off
	v_cvt_f32_f64_e32 v12, v[6:7]
	v_fma_f32 v5, v14, v9, -v5
	ds_read2_b64 v[6:9], v10 offset0:94 offset1:119
	v_cvt_f64_f32_e32 v[14:15], v5
	v_mul_f64 v[14:15], v[14:15], s[0:1]
	v_cvt_f32_f64_e32 v13, v[14:15]
	v_accvgpr_read_b32 v15, a9
	v_accvgpr_read_b32 v14, a8
	s_waitcnt lgkmcnt(0)
	v_mul_f32_e32 v5, v15, v7
	v_lshl_add_u64 v[2:3], v[2:3], 0, s[2:3]
	v_fmac_f32_e32 v5, v14, v6
	global_store_dwordx2 v[2:3], v[12:13], off
	v_cvt_f64_f32_e32 v[12:13], v5
	v_mul_f32_e32 v5, v15, v6
	v_fma_f32 v5, v14, v7, -v5
	v_cvt_f64_f32_e32 v[6:7], v5
	v_mul_f64 v[12:13], v[12:13], s[0:1]
	v_mul_f64 v[6:7], v[6:7], s[0:1]
	v_cvt_f32_f64_e32 v12, v[12:13]
	v_cvt_f32_f64_e32 v13, v[6:7]
	v_lshl_add_u64 v[2:3], v[2:3], 0, s[2:3]
	global_store_dwordx2 v[2:3], v[12:13], off
	v_accvgpr_read_b32 v13, a7
	v_accvgpr_read_b32 v12, a6
	v_mul_f32_e32 v5, v13, v9
	v_fmac_f32_e32 v5, v12, v8
	v_cvt_f64_f32_e32 v[6:7], v5
	v_mul_f32_e32 v5, v13, v8
	v_fma_f32 v5, v12, v9, -v5
	ds_read_b64 v[12:13], v210 offset:3200
	v_cvt_f64_f32_e32 v[8:9], v5
	v_mul_f64 v[6:7], v[6:7], s[0:1]
	v_mul_f64 v[8:9], v[8:9], s[0:1]
	v_cvt_f32_f64_e32 v6, v[6:7]
	v_cvt_f32_f64_e32 v7, v[8:9]
	v_accvgpr_read_b32 v9, a206             ;  Reload Reuse
	v_accvgpr_read_b32 v8, a208             ;  Reload Reuse
	s_waitcnt lgkmcnt(0)
	v_mul_f32_e32 v5, v9, v13
	v_lshl_add_u64 v[2:3], v[2:3], 0, s[2:3]
	v_fmac_f32_e32 v5, v8, v12
	global_store_dwordx2 v[2:3], v[6:7], off
	v_cvt_f64_f32_e32 v[6:7], v5
	v_mul_f32_e32 v5, v9, v12
	v_fma_f32 v5, v8, v13, -v5
	v_cvt_f64_f32_e32 v[8:9], v5
	v_mul_f64 v[6:7], v[6:7], s[0:1]
	v_mul_f64 v[8:9], v[8:9], s[0:1]
	v_cvt_f32_f64_e32 v6, v[6:7]
	v_cvt_f32_f64_e32 v7, v[8:9]
	v_lshl_add_u64 v[2:3], v[2:3], 0, s[2:3]
	global_store_dwordx2 v[2:3], v[6:7], off
	s_and_b64 exec, exec, vcc
	s_cbranch_execz .LBB0_15
; %bb.14:
	v_accvgpr_read_b32 v21, a3
	v_accvgpr_read_b32 v20, a2
	global_load_dwordx2 v[6:7], v[20:21], off offset:136
	ds_read_b64 v[8:9], v42 offset:136
	v_mov_b32_e32 v5, 0xfffff408
	v_mad_u64_u32 v[2:3], s[6:7], s4, v5, v[2:3]
	s_mul_i32 s8, s5, 0xfffff408
	s_sub_i32 s6, s8, s4
	v_add_u32_e32 v3, s6, v3
	s_waitcnt vmcnt(0) lgkmcnt(0)
	v_mul_f32_e32 v5, v9, v7
	v_mul_f32_e32 v7, v8, v7
	v_fmac_f32_e32 v5, v8, v6
	v_fma_f32 v8, v6, v9, -v7
	v_cvt_f64_f32_e32 v[6:7], v5
	v_cvt_f64_f32_e32 v[8:9], v8
	v_mul_f64 v[6:7], v[6:7], s[0:1]
	v_mul_f64 v[8:9], v[8:9], s[0:1]
	v_cvt_f32_f64_e32 v6, v[6:7]
	v_cvt_f32_f64_e32 v7, v[8:9]
	global_store_dwordx2 v[2:3], v[6:7], off
	global_load_dwordx2 v[12:13], v[20:21], off offset:336
	ds_read2_b64 v[6:9], v210 offset0:42 offset1:67
	v_lshl_add_u64 v[2:3], v[2:3], 0, s[2:3]
	s_waitcnt vmcnt(0) lgkmcnt(0)
	v_mul_f32_e32 v5, v7, v13
	v_mul_f32_e32 v11, v6, v13
	v_fmac_f32_e32 v5, v6, v12
	v_fma_f32 v11, v12, v7, -v11
	v_cvt_f64_f32_e32 v[6:7], v5
	v_cvt_f64_f32_e32 v[12:13], v11
	v_mul_f64 v[6:7], v[6:7], s[0:1]
	v_mul_f64 v[12:13], v[12:13], s[0:1]
	v_cvt_f32_f64_e32 v6, v[6:7]
	v_cvt_f32_f64_e32 v7, v[12:13]
	global_store_dwordx2 v[2:3], v[6:7], off
	global_load_dwordx2 v[6:7], v[20:21], off offset:536
	v_lshl_add_u64 v[2:3], v[2:3], 0, s[2:3]
	s_waitcnt vmcnt(0)
	v_mul_f32_e32 v5, v9, v7
	v_mul_f32_e32 v7, v8, v7
	v_fmac_f32_e32 v5, v8, v6
	v_fma_f32 v8, v6, v9, -v7
	v_cvt_f64_f32_e32 v[6:7], v5
	v_cvt_f64_f32_e32 v[8:9], v8
	v_mul_f64 v[6:7], v[6:7], s[0:1]
	v_mul_f64 v[8:9], v[8:9], s[0:1]
	v_cvt_f32_f64_e32 v6, v[6:7]
	v_cvt_f32_f64_e32 v7, v[8:9]
	global_store_dwordx2 v[2:3], v[6:7], off
	global_load_dwordx2 v[12:13], v[20:21], off offset:736
	ds_read2_b64 v[6:9], v210 offset0:92 offset1:117
	v_lshl_add_u64 v[2:3], v[2:3], 0, s[2:3]
	s_waitcnt vmcnt(0) lgkmcnt(0)
	v_mul_f32_e32 v5, v7, v13
	v_mul_f32_e32 v11, v6, v13
	v_fmac_f32_e32 v5, v6, v12
	v_fma_f32 v11, v12, v7, -v11
	v_cvt_f64_f32_e32 v[6:7], v5
	v_cvt_f64_f32_e32 v[12:13], v11
	v_mul_f64 v[6:7], v[6:7], s[0:1]
	v_mul_f64 v[12:13], v[12:13], s[0:1]
	v_cvt_f32_f64_e32 v6, v[6:7]
	v_cvt_f32_f64_e32 v7, v[12:13]
	global_store_dwordx2 v[2:3], v[6:7], off
	global_load_dwordx2 v[6:7], v[20:21], off offset:936
	v_lshl_add_u64 v[2:3], v[2:3], 0, s[2:3]
	s_waitcnt vmcnt(0)
	;; [unrolled: 29-line block ×3, first 2 shown]
	v_mul_f32_e32 v5, v9, v7
	v_mul_f32_e32 v7, v8, v7
	v_fmac_f32_e32 v5, v8, v6
	v_fma_f32 v8, v6, v9, -v7
	v_cvt_f64_f32_e32 v[6:7], v5
	v_cvt_f64_f32_e32 v[8:9], v8
	v_mul_f64 v[6:7], v[6:7], s[0:1]
	v_mul_f64 v[8:9], v[8:9], s[0:1]
	v_cvt_f32_f64_e32 v6, v[6:7]
	v_cvt_f32_f64_e32 v7, v[8:9]
	global_store_dwordx2 v[2:3], v[6:7], off
	global_load_dwordx2 v[12:13], v[20:21], off offset:1536
	ds_read2_b64 v[6:9], v210 offset0:192 offset1:217
	v_or_b32_e32 v5, 0xc0, v18
	v_mad_u64_u32 v[14:15], s[6:7], s4, v5, 0
	v_mov_b32_e32 v16, v15
	v_mad_u64_u32 v[16:17], s[6:7], s5, v5, v[16:17]
	v_mov_b32_e32 v15, v16
	v_lshl_add_u64 v[14:15], v[14:15], 3, v[0:1]
	s_mul_i32 s6, s5, 0x190
	s_waitcnt vmcnt(0) lgkmcnt(0)
	v_mul_f32_e32 v5, v7, v13
	v_mul_f32_e32 v11, v6, v13
	v_fmac_f32_e32 v5, v6, v12
	v_fma_f32 v11, v12, v7, -v11
	v_cvt_f64_f32_e32 v[6:7], v5
	v_cvt_f64_f32_e32 v[12:13], v11
	v_mul_f64 v[6:7], v[6:7], s[0:1]
	v_mul_f64 v[12:13], v[12:13], s[0:1]
	v_cvt_f32_f64_e32 v6, v[6:7]
	v_cvt_f32_f64_e32 v7, v[12:13]
	global_store_dwordx2 v[14:15], v[6:7], off
	global_load_dwordx2 v[6:7], v[20:21], off offset:1736
	v_mov_b32_e32 v14, 0x190
	v_mad_u64_u32 v[12:13], s[8:9], s4, v14, v[2:3]
	v_add_u32_e32 v13, s6, v13
	s_waitcnt vmcnt(0)
	v_mul_f32_e32 v2, v9, v7
	v_mul_f32_e32 v3, v8, v7
	v_fmac_f32_e32 v2, v8, v6
	v_fma_f32 v5, v6, v9, -v3
	v_cvt_f64_f32_e32 v[2:3], v2
	v_cvt_f64_f32_e32 v[6:7], v5
	v_mul_f64 v[2:3], v[2:3], s[0:1]
	v_mul_f64 v[6:7], v[6:7], s[0:1]
	v_cvt_f32_f64_e32 v2, v[2:3]
	v_cvt_f32_f64_e32 v3, v[6:7]
	global_store_dwordx2 v[12:13], v[2:3], off
	global_load_dwordx2 v[6:7], v[20:21], off offset:1936
	ds_read2_b64 v[2:5], v4 offset0:114 offset1:139
	v_lshl_add_u64 v[8:9], v[12:13], 0, s[2:3]
	v_or_b32_e32 v13, 0x188, v18
	s_waitcnt vmcnt(0) lgkmcnt(0)
	v_mul_f32_e32 v11, v3, v7
	v_mul_f32_e32 v7, v2, v7
	v_fmac_f32_e32 v11, v2, v6
	v_fma_f32 v6, v6, v3, -v7
	v_cvt_f64_f32_e32 v[2:3], v11
	v_cvt_f64_f32_e32 v[6:7], v6
	v_mul_f64 v[2:3], v[2:3], s[0:1]
	v_mul_f64 v[6:7], v[6:7], s[0:1]
	v_cvt_f32_f64_e32 v2, v[2:3]
	v_cvt_f32_f64_e32 v3, v[6:7]
	global_store_dwordx2 v[8:9], v[2:3], off
	global_load_dwordx2 v[2:3], v[20:21], off offset:2136
	v_lshl_add_u64 v[6:7], v[8:9], 0, s[2:3]
	s_waitcnt vmcnt(0)
	v_mul_f32_e32 v8, v5, v3
	v_mul_f32_e32 v3, v4, v3
	v_fmac_f32_e32 v8, v4, v2
	v_fma_f32 v4, v2, v5, -v3
	v_cvt_f64_f32_e32 v[2:3], v8
	v_cvt_f64_f32_e32 v[4:5], v4
	v_mul_f64 v[2:3], v[2:3], s[0:1]
	v_mul_f64 v[4:5], v[4:5], s[0:1]
	v_cvt_f32_f64_e32 v2, v[2:3]
	v_cvt_f32_f64_e32 v3, v[4:5]
	global_store_dwordx2 v[6:7], v[2:3], off
	global_load_dwordx2 v[8:9], v[20:21], off offset:2336
	ds_read2_b64 v[2:5], v10 offset0:36 offset1:61
	v_lshl_add_u64 v[6:7], v[6:7], 0, s[2:3]
	s_waitcnt vmcnt(0) lgkmcnt(0)
	v_mul_f32_e32 v11, v3, v9
	v_mul_f32_e32 v9, v2, v9
	v_fmac_f32_e32 v11, v2, v8
	v_fma_f32 v8, v8, v3, -v9
	v_cvt_f64_f32_e32 v[2:3], v11
	v_cvt_f64_f32_e32 v[8:9], v8
	v_mul_f64 v[2:3], v[2:3], s[0:1]
	v_mul_f64 v[8:9], v[8:9], s[0:1]
	v_cvt_f32_f64_e32 v2, v[2:3]
	v_cvt_f32_f64_e32 v3, v[8:9]
	global_store_dwordx2 v[6:7], v[2:3], off
	global_load_dwordx2 v[2:3], v[20:21], off offset:2536
	v_lshl_add_u64 v[6:7], v[6:7], 0, s[2:3]
	s_waitcnt vmcnt(0)
	v_mul_f32_e32 v8, v5, v3
	v_mul_f32_e32 v3, v4, v3
	v_fmac_f32_e32 v8, v4, v2
	v_fma_f32 v4, v2, v5, -v3
	v_cvt_f64_f32_e32 v[2:3], v8
	v_cvt_f64_f32_e32 v[4:5], v4
	v_mul_f64 v[2:3], v[2:3], s[0:1]
	v_mul_f64 v[4:5], v[4:5], s[0:1]
	v_cvt_f32_f64_e32 v2, v[2:3]
	v_cvt_f32_f64_e32 v3, v[4:5]
	global_store_dwordx2 v[6:7], v[2:3], off
	global_load_dwordx2 v[8:9], v[20:21], off offset:2736
	ds_read2_b64 v[2:5], v10 offset0:86 offset1:111
	v_lshl_add_u64 v[6:7], v[6:7], 0, s[2:3]
	s_waitcnt vmcnt(0) lgkmcnt(0)
	v_mul_f32_e32 v11, v3, v9
	v_mul_f32_e32 v9, v2, v9
	v_fmac_f32_e32 v11, v2, v8
	v_fma_f32 v8, v8, v3, -v9
	v_cvt_f64_f32_e32 v[2:3], v11
	v_cvt_f64_f32_e32 v[8:9], v8
	v_mul_f64 v[2:3], v[2:3], s[0:1]
	v_mul_f64 v[8:9], v[8:9], s[0:1]
	v_cvt_f32_f64_e32 v2, v[2:3]
	v_cvt_f32_f64_e32 v3, v[8:9]
	global_store_dwordx2 v[6:7], v[2:3], off
	global_load_dwordx2 v[2:3], v[20:21], off offset:2936
	v_lshl_add_u64 v[6:7], v[6:7], 0, s[2:3]
	s_waitcnt vmcnt(0)
	v_mul_f32_e32 v8, v5, v3
	v_mul_f32_e32 v3, v4, v3
	v_fmac_f32_e32 v8, v4, v2
	v_fma_f32 v4, v2, v5, -v3
	v_cvt_f64_f32_e32 v[2:3], v8
	v_cvt_f64_f32_e32 v[4:5], v4
	v_mul_f64 v[2:3], v[2:3], s[0:1]
	v_mul_f64 v[4:5], v[4:5], s[0:1]
	v_cvt_f32_f64_e32 v2, v[2:3]
	v_cvt_f32_f64_e32 v3, v[4:5]
	global_store_dwordx2 v[6:7], v[2:3], off
	global_load_dwordx2 v[8:9], v[20:21], off offset:3136
	ds_read2_b64 v[2:5], v10 offset0:136 offset1:161
	v_mad_u64_u32 v[10:11], s[2:3], s4, v13, 0
	v_mov_b32_e32 v12, v11
	v_mad_u64_u32 v[12:13], s[2:3], s5, v13, v[12:13]
	v_mov_b32_e32 v11, v12
	v_lshl_add_u64 v[0:1], v[10:11], 3, v[0:1]
	s_waitcnt vmcnt(0) lgkmcnt(0)
	v_mul_f32_e32 v10, v3, v9
	v_mul_f32_e32 v9, v2, v9
	v_fmac_f32_e32 v10, v2, v8
	v_fma_f32 v8, v8, v3, -v9
	v_cvt_f64_f32_e32 v[2:3], v10
	v_cvt_f64_f32_e32 v[8:9], v8
	v_mul_f64 v[2:3], v[2:3], s[0:1]
	v_mul_f64 v[8:9], v[8:9], s[0:1]
	v_cvt_f32_f64_e32 v2, v[2:3]
	v_cvt_f32_f64_e32 v3, v[8:9]
	global_store_dwordx2 v[0:1], v[2:3], off
	global_load_dwordx2 v[0:1], v[20:21], off offset:3336
	v_mad_u64_u32 v[2:3], s[2:3], s4, v14, v[6:7]
	v_add_u32_e32 v3, s6, v3
	s_waitcnt vmcnt(0)
	v_mul_f32_e32 v6, v5, v1
	v_mul_f32_e32 v1, v4, v1
	v_fmac_f32_e32 v6, v4, v0
	v_fma_f32 v4, v0, v5, -v1
	v_cvt_f64_f32_e32 v[0:1], v6
	v_cvt_f64_f32_e32 v[4:5], v4
	v_mul_f64 v[0:1], v[0:1], s[0:1]
	v_mul_f64 v[4:5], v[4:5], s[0:1]
	v_cvt_f32_f64_e32 v0, v[0:1]
	v_cvt_f32_f64_e32 v1, v[4:5]
	global_store_dwordx2 v[2:3], v[0:1], off
.LBB0_15:
	s_endpgm
	.section	.rodata,"a",@progbits
	.p2align	6, 0x0
	.amdhsa_kernel bluestein_single_fwd_len425_dim1_sp_op_CI_CI
		.amdhsa_group_segment_fixed_size 10200
		.amdhsa_private_segment_fixed_size 0
		.amdhsa_kernarg_size 104
		.amdhsa_user_sgpr_count 2
		.amdhsa_user_sgpr_dispatch_ptr 0
		.amdhsa_user_sgpr_queue_ptr 0
		.amdhsa_user_sgpr_kernarg_segment_ptr 1
		.amdhsa_user_sgpr_dispatch_id 0
		.amdhsa_user_sgpr_kernarg_preload_length 0
		.amdhsa_user_sgpr_kernarg_preload_offset 0
		.amdhsa_user_sgpr_private_segment_size 0
		.amdhsa_uses_dynamic_stack 0
		.amdhsa_enable_private_segment 0
		.amdhsa_system_sgpr_workgroup_id_x 1
		.amdhsa_system_sgpr_workgroup_id_y 0
		.amdhsa_system_sgpr_workgroup_id_z 0
		.amdhsa_system_sgpr_workgroup_info 0
		.amdhsa_system_vgpr_workitem_id 0
		.amdhsa_next_free_vgpr 512
		.amdhsa_next_free_sgpr 80
		.amdhsa_accum_offset 256
		.amdhsa_reserve_vcc 1
		.amdhsa_float_round_mode_32 0
		.amdhsa_float_round_mode_16_64 0
		.amdhsa_float_denorm_mode_32 3
		.amdhsa_float_denorm_mode_16_64 3
		.amdhsa_dx10_clamp 1
		.amdhsa_ieee_mode 1
		.amdhsa_fp16_overflow 0
		.amdhsa_tg_split 0
		.amdhsa_exception_fp_ieee_invalid_op 0
		.amdhsa_exception_fp_denorm_src 0
		.amdhsa_exception_fp_ieee_div_zero 0
		.amdhsa_exception_fp_ieee_overflow 0
		.amdhsa_exception_fp_ieee_underflow 0
		.amdhsa_exception_fp_ieee_inexact 0
		.amdhsa_exception_int_div_zero 0
	.end_amdhsa_kernel
	.text
.Lfunc_end0:
	.size	bluestein_single_fwd_len425_dim1_sp_op_CI_CI, .Lfunc_end0-bluestein_single_fwd_len425_dim1_sp_op_CI_CI
                                        ; -- End function
	.section	.AMDGPU.csdata,"",@progbits
; Kernel info:
; codeLenInByte = 38916
; NumSgprs: 86
; NumVgprs: 256
; NumAgprs: 256
; TotalNumVgprs: 512
; ScratchSize: 0
; MemoryBound: 0
; FloatMode: 240
; IeeeMode: 1
; LDSByteSize: 10200 bytes/workgroup (compile time only)
; SGPRBlocks: 10
; VGPRBlocks: 63
; NumSGPRsForWavesPerEU: 86
; NumVGPRsForWavesPerEU: 512
; AccumOffset: 256
; Occupancy: 1
; WaveLimiterHint : 1
; COMPUTE_PGM_RSRC2:SCRATCH_EN: 0
; COMPUTE_PGM_RSRC2:USER_SGPR: 2
; COMPUTE_PGM_RSRC2:TRAP_HANDLER: 0
; COMPUTE_PGM_RSRC2:TGID_X_EN: 1
; COMPUTE_PGM_RSRC2:TGID_Y_EN: 0
; COMPUTE_PGM_RSRC2:TGID_Z_EN: 0
; COMPUTE_PGM_RSRC2:TIDIG_COMP_CNT: 0
; COMPUTE_PGM_RSRC3_GFX90A:ACCUM_OFFSET: 63
; COMPUTE_PGM_RSRC3_GFX90A:TG_SPLIT: 0
	.text
	.p2alignl 6, 3212836864
	.fill 256, 4, 3212836864
	.type	__hip_cuid_43fa188c27b68c9b,@object ; @__hip_cuid_43fa188c27b68c9b
	.section	.bss,"aw",@nobits
	.globl	__hip_cuid_43fa188c27b68c9b
__hip_cuid_43fa188c27b68c9b:
	.byte	0                               ; 0x0
	.size	__hip_cuid_43fa188c27b68c9b, 1

	.ident	"AMD clang version 19.0.0git (https://github.com/RadeonOpenCompute/llvm-project roc-6.4.0 25133 c7fe45cf4b819c5991fe208aaa96edf142730f1d)"
	.section	".note.GNU-stack","",@progbits
	.addrsig
	.addrsig_sym __hip_cuid_43fa188c27b68c9b
	.amdgpu_metadata
---
amdhsa.kernels:
  - .agpr_count:     256
    .args:
      - .actual_access:  read_only
        .address_space:  global
        .offset:         0
        .size:           8
        .value_kind:     global_buffer
      - .actual_access:  read_only
        .address_space:  global
        .offset:         8
        .size:           8
        .value_kind:     global_buffer
      - .actual_access:  read_only
        .address_space:  global
        .offset:         16
        .size:           8
        .value_kind:     global_buffer
      - .actual_access:  read_only
        .address_space:  global
        .offset:         24
        .size:           8
        .value_kind:     global_buffer
      - .actual_access:  read_only
        .address_space:  global
        .offset:         32
        .size:           8
        .value_kind:     global_buffer
      - .offset:         40
        .size:           8
        .value_kind:     by_value
      - .address_space:  global
        .offset:         48
        .size:           8
        .value_kind:     global_buffer
      - .address_space:  global
        .offset:         56
        .size:           8
        .value_kind:     global_buffer
      - .address_space:  global
        .offset:         64
        .size:           8
        .value_kind:     global_buffer
      - .address_space:  global
        .offset:         72
        .size:           8
        .value_kind:     global_buffer
      - .offset:         80
        .size:           4
        .value_kind:     by_value
      - .address_space:  global
        .offset:         88
        .size:           8
        .value_kind:     global_buffer
      - .address_space:  global
        .offset:         96
        .size:           8
        .value_kind:     global_buffer
    .group_segment_fixed_size: 10200
    .kernarg_segment_align: 8
    .kernarg_segment_size: 104
    .language:       OpenCL C
    .language_version:
      - 2
      - 0
    .max_flat_workgroup_size: 51
    .name:           bluestein_single_fwd_len425_dim1_sp_op_CI_CI
    .private_segment_fixed_size: 0
    .sgpr_count:     86
    .sgpr_spill_count: 0
    .symbol:         bluestein_single_fwd_len425_dim1_sp_op_CI_CI.kd
    .uniform_work_group_size: 1
    .uses_dynamic_stack: false
    .vgpr_count:     512
    .vgpr_spill_count: 2
    .wavefront_size: 64
amdhsa.target:   amdgcn-amd-amdhsa--gfx950
amdhsa.version:
  - 1
  - 2
...

	.end_amdgpu_metadata
